;; amdgpu-corpus repo=ROCm/aiter kind=harvested arch=n/a opt=n/a

/root/src/amdgpu-assembly/repos/ROCm__aiter/hsa/gfx942/fmha_v3_fwd/MI300/fwd_hd128_fp8_group.co:	file format elf64-amdgpu

Disassembly of section .text:

0000000000003b00 <_ZN5aiter24fmha_fwd_hd128_fp8_groupE>:
	s_and_b32 s1, s1, 0xffff                                   // 000000003B00: 8601FF01 0000FFFF
	s_load_dwordx2 s[20:21], s[0:1], 0x0                       // 000000003B08: C0060500 00000000
	s_load_dwordx2 s[8:9], s[0:1], 0x10                        // 000000003B10: C0060200 00000010
	s_load_dwordx2 s[12:13], s[0:1], 0x20                      // 000000003B18: C0060300 00000020
	s_load_dwordx2 s[16:17], s[0:1], 0x30                      // 000000003B20: C0060400 00000030
	s_load_dwordx2 s[24:25], s[0:1], 0x40                      // 000000003B28: C0060600 00000040
	s_load_dword s28, s[0:1], 0x50                             // 000000003B30: C0020700 00000050
	s_load_dword s29, s[0:1], 0x60                             // 000000003B38: C0020740 00000060
	s_load_dword s41, s[0:1], 0x70                             // 000000003B40: C0020A40 00000070
	s_load_dword s30, s[0:1], 0x80                             // 000000003B48: C0020780 00000080
	s_load_dword s77, s[0:1], 0x90                             // 000000003B50: C0021340 00000090
	s_load_dword s78, s[0:1], 0xa0                             // 000000003B58: C0021380 000000A0
	s_load_dword s79, s[0:1], 0xb0                             // 000000003B60: C00213C0 000000B0
	s_load_dword s40, s[0:1], 0xc0                             // 000000003B68: C0020A00 000000C0
	s_load_dword s80, s[0:1], 0xd0                             // 000000003B70: C0021400 000000D0
	s_load_dword s81, s[0:1], 0xe0                             // 000000003B78: C0021440 000000E0
	s_load_dword s31, s[0:1], 0xf0                             // 000000003B80: C00207C0 000000F0
	s_load_dword s33, s[0:1], 0x100                            // 000000003B88: C0020840 00000100
	s_load_dword s7, s[0:1], 0x110                             // 000000003B90: C00201C0 00000110
	s_load_dword s76, s[0:1], 0x140                            // 000000003B98: C0021300 00000140
	s_load_dword s43, s[0:1], 0x150                            // 000000003BA0: C0020AC0 00000150
	s_load_dword s67, s[0:1], 0x160                            // 000000003BA8: C00210C0 00000160
	s_load_dword s68, s[0:1], 0x170                            // 000000003BB0: C0021100 00000170
	s_load_dword s44, s[0:1], 0x180                            // 000000003BB8: C0020B00 00000180
	s_load_dword s69, s[0:1], 0x190                            // 000000003BC0: C0021140 00000190
	s_load_dword s70, s[0:1], 0x1a0                            // 000000003BC8: C0021180 000001A0
	s_load_dwordx2 s[50:51], s[0:1], 0x1b0                     // 000000003BD0: C0060C80 000001B0
	s_load_dwordx2 s[52:53], s[0:1], 0x1c0                     // 000000003BD8: C0060D00 000001C0
	s_load_dword s71, s[0:1], 0x1d0                            // 000000003BE0: C00211C0 000001D0
	s_load_dwordx2 s[54:55], s[0:1], 0x1e0                     // 000000003BE8: C0060D80 000001E0
	s_load_dwordx2 s[56:57], s[0:1], 0x1f0                     // 000000003BF0: C0060E00 000001F0
	s_load_dwordx2 s[58:59], s[0:1], 0x200                     // 000000003BF8: C0060E80 00000200
	s_load_dwordx2 s[60:61], s[0:1], 0x210                     // 000000003C00: C0060F00 00000210
	s_load_dwordx2 s[62:63], s[0:1], 0x220                     // 000000003C08: C0060F80 00000220
	s_load_dword s82, s[0:1], 0x230                            // 000000003C10: C0021480 00000230
	s_load_dword s83, s[0:1], 0x240                            // 000000003C18: C00214C0 00000240
	s_load_dword s84, s[0:1], 0x250                            // 000000003C20: C0021500 00000250
	s_load_dword s85, s[0:1], 0x260                            // 000000003C28: C0021540 00000260
	s_load_dword s86, s[0:1], 0x270                            // 000000003C30: C0021580 00000270
	s_load_dword s87, s[0:1], 0x280                            // 000000003C38: C00215C0 00000280
	v_lshrrev_b32_e32 v1, 10, v0                               // 000000003C40: 2002008A
	v_lshrrev_b32_e32 v2, 10, v1                               // 000000003C44: 2004028A
	v_and_b32_e32 v2, 0x3ff, v2                                // 000000003C48: 260404FF 000003FF
	v_and_b32_e32 v1, 0x3ff, v1                                // 000000003C50: 260202FF 000003FF
	v_and_b32_e32 v0, 0x3ff, v0                                // 000000003C58: 260000FF 000003FF
	v_lshrrev_b32_e32 v3, 6, v0                                // 000000003C60: 20060086
	v_and_b32_e32 v0, 63, v0                                   // 000000003C64: 260000BF
	s_mov_b32 s2, s2                                           // 000000003C68: BE820002
	s_mov_b32 s3, s3                                           // 000000003C6C: BE830003
	s_mov_b32 s4, s4                                           // 000000003C70: BE840004
	v_readfirstlane_b32 s5, v3                                 // 000000003C74: 7E0A0503
	s_waitcnt lgkmcnt(0)                                       // 000000003C78: BF8CC07F
	s_and_b32 s31, s31, 1                                      // 000000003C7C: 861F811F
	s_nop 1                                                    // 000000003C80: BF800001
	s_and_b32 s51, s51, 0xffff                                 // 000000003C84: 8633FF33 0000FFFF
	s_and_b32 s53, s53, 0xffff                                 // 000000003C8C: 8635FF35 0000FFFF
	s_and_b32 s55, s55, 0xffff                                 // 000000003C94: 8637FF37 0000FFFF
	s_and_b32 s57, s57, 0xffff                                 // 000000003C9C: 8639FF39 0000FFFF
	s_mul_i32 s34, s3, 4                                       // 000000003CA4: 92228403
	s_load_dword s72, s[54:55], s34                            // 000000003CA8: C000121B 00000022
	s_load_dword s73, s[56:57], s34                            // 000000003CB0: C000125C 00000022
	s_load_dword s35, s[50:51], s34                            // 000000003CB8: C00008D9 00000022
	s_load_dword s36, s[52:53], s34                            // 000000003CC0: C000091A 00000022
	s_add_u32 s34, s34, 4                                      // 000000003CC8: 80228422
	s_load_dword s74, s[50:51], s34                            // 000000003CCC: C0001299 00000022
	s_load_dword s75, s[52:53], s34                            // 000000003CD4: C00012DA 00000022
	s_waitcnt lgkmcnt(0)                                       // 000000003CDC: BF8CC07F
	s_sub_u32 s29, s74, s35                                    // 000000003CE0: 809D234A
	s_sub_u32 s7, s75, s36                                     // 000000003CE4: 8087244B
	s_add_i32 s34, s29, 0xff                                   // 000000003CE8: 8122FF1D 000000FF
	s_lshr_b32 s34, s34, 8                                     // 000000003CF0: 8F228822
	s_cmp_lt_i32 s4, s34                                       // 000000003CF4: BF042204
	s_cbranch_scc0 label_12AC                                  // 000000003CF8: BF84122D
	s_mul_i32 s34, s29, s41                                    // 000000003CFC: 9222291D
	s_mov_b32 s10, s34                                         // 000000003D00: BE8A0022
	s_mul_i32 s34, s29, s44                                    // 000000003D04: 92222C1D
	s_mov_b32 s22, s34                                         // 000000003D08: BE960022
	s_mul_i32 s34, s7, s40                                     // 000000003D0C: 92222807
	s_mov_b32 s14, s34                                         // 000000003D10: BE8E0022
	s_mul_i32 s34, s7, s43                                     // 000000003D14: 92222B07
	s_mov_b32 s18, s34                                         // 000000003D18: BE920022
	s_mul_i32 s34, s29, 4                                      // 000000003D1C: 9222841D
	s_mov_b32 s26, s34                                         // 000000003D20: BE9A0022
	s_mov_b32 s23, 0x20000                                     // 000000003D24: BE9700FF 00020000
	s_mov_b32 s11, 0x20000                                     // 000000003D2C: BE8B00FF 00020000
	s_mov_b32 s15, 0x20000                                     // 000000003D34: BE8F00FF 00020000
	s_mov_b32 s19, 0x20000                                     // 000000003D3C: BE9300FF 00020000
	s_mov_b32 s27, 0x20000                                     // 000000003D44: BE9B00FF 00020000
	s_and_b32 s21, s21, 0xffff                                 // 000000003D4C: 8615FF15 0000FFFF
	s_and_b32 s9, s9, 0xffff                                   // 000000003D54: 8609FF09 0000FFFF
	s_and_b32 s13, s13, 0xffff                                 // 000000003D5C: 860DFF0D 0000FFFF
	s_and_b32 s17, s17, 0xffff                                 // 000000003D64: 8611FF11 0000FFFF
	s_and_b32 s25, s25, 0xffff                                 // 000000003D6C: 8619FF19 0000FFFF
	s_nop 0                                                    // 000000003D74: BF800000
	s_nop 0                                                    // 000000003D78: BF800000
	s_mov_b32 s64, s2                                          // 000000003D7C: BEC00002
	s_mov_b32 s65, s79                                         // 000000003D80: BEC1004F
	v_cvt_f32_u32_e32 v16, s65                                 // 000000003D84: 7E200C41
	s_sub_i32 s34, 0, s65                                      // 000000003D88: 81A24180
	v_rcp_iflag_f32_e32 v16, v16                               // 000000003D8C: 7E204710
	s_nop 0                                                    // 000000003D90: BF800000
	v_mul_f32_e32 v16, 0x4f7ffffe, v16                         // 000000003D94: 0A2020FF 4F7FFFFE
	v_cvt_u32_f32_e32 v16, v16                                 // 000000003D9C: 7E200F10
	v_mul_lo_u32 v17, s34, v16                                 // 000000003DA0: D2850011 00022022
	v_mul_hi_u32 v17, v16, v17                                 // 000000003DA8: D2860011 00022310
	v_add_u32_e32 v16, v16, v17                                // 000000003DB0: 68202310
	v_mul_hi_u32 v16, s64, v16                                 // 000000003DB4: D2860010 00022040
	v_mul_lo_u32 v17, v16, s65                                 // 000000003DBC: D2850011 00008310
	v_sub_u32_e32 v19, s64, v17                                // 000000003DC4: 6A262240
	v_add_u32_e32 v18, 1, v16                                  // 000000003DC8: 68242081
	v_cmp_le_u32_e32 vcc, s65, v19                             // 000000003DCC: 7D962641
	v_subrev_u32_e32 v17, s65, v19                             // 000000003DD0: 6C222641
	s_nop 0                                                    // 000000003DD4: BF800000
	v_cndmask_b32_e32 v16, v16, v18, vcc                       // 000000003DD8: 00202510
	v_cndmask_b32_e32 v19, v19, v17, vcc                       // 000000003DDC: 00262313
	v_add_u32_e32 v17, 1, v16                                  // 000000003DE0: 68222081
	v_cmp_le_u32_e32 vcc, s65, v19                             // 000000003DE4: 7D962641
	s_nop 1                                                    // 000000003DE8: BF800001
	v_cndmask_b32_e32 v19, v16, v17, vcc                       // 000000003DEC: 00262310
	s_nop 3                                                    // 000000003DF0: BF800003
	v_readfirstlane_b32 s66, v19                               // 000000003DF4: 7E840513
	s_nop 3                                                    // 000000003DF8: BF800003
	v_mov_b32_e32 v41, 0xffff0000                              // 000000003DFC: 7E5202FF FFFF0000
	v_mov_b32_e32 v42, 0x7fff0000                              // 000000003E04: 7E5402FF 7FFF0000
	v_mov_b32_e32 v43, 0x7fff                                  // 000000003E0C: 7E5602FF 00007FFF
	v_lshrrev_b32_e32 v16, 5, v0                               // 000000003E14: 20200085
	v_sub_u32_e32 v16, 1, v16                                  // 000000003E18: 6A202081
	v_mul_i32_i24_e32 v32, 0x80, v16                           // 000000003E1C: 0C4020FF 00000080
	v_and_b32_e32 v16, 31, v0                                  // 000000003E24: 2620009F
	v_mul_i32_i24_e32 v16, 4, v16                              // 000000003E28: 0C202084
	v_add_u32_e32 v32, v16, v32                                // 000000003E2C: 68404110
	s_mul_i32 s34, s72, s41                                    // 000000003E30: 92222948
	s_mul_hi_u32 s36, s72, s41                                 // 000000003E34: 96242948
	s_and_b32 s36, s36, 0xffff                                 // 000000003E38: 8624FF24 0000FFFF
	s_mul_i32 s35, s2, s77                                     // 000000003E40: 92234D02
	s_add_u32 s34, s34, s35                                    // 000000003E44: 80222322
	s_add_u32 s8, s34, s8                                      // 000000003E48: 80080822
	s_addc_u32 s9, s36, s9                                     // 000000003E4C: 82090924
	s_mul_i32 s34, s72, s44                                    // 000000003E50: 92222C48
	s_mul_hi_u32 s36, s72, s44                                 // 000000003E54: 96242C48
	s_and_b32 s36, s36, 0xffff                                 // 000000003E58: 8624FF24 0000FFFF
	s_mul_i32 s35, s2, s69                                     // 000000003E60: 92234502
	s_add_u32 s34, s34, s35                                    // 000000003E64: 80222322
	s_add_u32 s20, s34, s20                                    // 000000003E68: 80141422
	s_addc_u32 s21, s36, s21                                   // 000000003E6C: 82151524
	s_mul_i32 s34, s2, s71                                     // 000000003E70: 92224702
	s_mul_i32 s35, s72, 4                                      // 000000003E74: 92238448
	s_add_i32 s34, s34, s35                                    // 000000003E78: 81222322
	s_add_u32 s24, s34, s24                                    // 000000003E7C: 80181822
	s_addc_u32 s25, 0, s25                                     // 000000003E80: 82191980
	s_mul_i32 s34, s73, s40                                    // 000000003E84: 92222849
	s_mul_hi_u32 s36, s73, s40                                 // 000000003E88: 96242849
	s_and_b32 s36, s36, 0xffff                                 // 000000003E8C: 8624FF24 0000FFFF
	s_mul_i32 s35, s66, s80                                    // 000000003E94: 92235042
	s_add_u32 s34, s34, s35                                    // 000000003E98: 80222322
	s_add_u32 s12, s34, s12                                    // 000000003E9C: 800C0C22
	s_addc_u32 s13, s36, s13                                   // 000000003EA0: 820D0D24
	s_mul_i32 s34, s73, s43                                    // 000000003EA4: 92222B49
	s_mul_hi_u32 s36, s73, s43                                 // 000000003EA8: 96242B49
	s_and_b32 s36, s36, 0xffff                                 // 000000003EAC: 8624FF24 0000FFFF
	s_mul_i32 s35, s66, s67                                    // 000000003EB4: 92234342
	s_add_u32 s34, s34, s35                                    // 000000003EB8: 80222322
	s_add_u32 s16, s34, s16                                    // 000000003EBC: 80101022
	s_addc_u32 s17, s36, s17                                   // 000000003EC0: 82111124
	s_and_b32 s59, s59, 0xffff                                 // 000000003EC4: 863BFF3B 0000FFFF
	s_and_b32 s61, s61, 0xffff                                 // 000000003ECC: 863DFF3D 0000FFFF
	s_and_b32 s63, s63, 0xffff                                 // 000000003ED4: 863FFF3F 0000FFFF
	s_mul_i32 s34, s3, s82                                     // 000000003EDC: 92225203
	s_mul_i32 s35, s66, s83                                    // 000000003EE0: 92235342
	s_add_u32 s34, s35, s34                                    // 000000003EE4: 80222223
	s_load_dword s37, s[58:59], s34                            // 000000003EE8: C000095D 00000022
	s_mul_i32 s34, s3, s84                                     // 000000003EF0: 92225403
	s_mul_i32 s35, s66, s85                                    // 000000003EF4: 92235542
	s_add_u32 s34, s35, s34                                    // 000000003EF8: 80222223
	s_load_dword s38, s[60:61], s34                            // 000000003EFC: C000099E 00000022
	s_mul_i32 s34, s3, s86                                     // 000000003F04: 92225603
	s_mul_i32 s35, s66, s87                                    // 000000003F08: 92235742
	s_add_u32 s34, s35, s34                                    // 000000003F0C: 80222223
	s_load_dword s39, s[62:63], s34                            // 000000003F10: C00009DF 00000022
	s_waitcnt lgkmcnt(0)                                       // 000000003F18: BF8CC07F
	s_mov_b32 s72, 0                                           // 000000003F1C: BEC80080
	s_mov_b32 s73, 64                                          // 000000003F20: BEC900C0
	s_mov_b32 s60, 0                                           // 000000003F24: BEBC0080
	s_mov_b32 s61, 0x3fb8aa3b                                  // 000000003F28: BEBD00FF 3FB8AA3B
	v_mov_b32_e32 v31, 0xff800000                              // 000000003F30: 7E3E02FF FF800000
	s_mov_b32 s56, 0                                           // 000000003F38: BEB80080
	s_mov_b32 s57, 0                                           // 000000003F3C: BEB90080
	s_mov_b32 s32, 0                                           // 000000003F40: BEA00080
	s_mul_i32 s64, 64, s40                                     // 000000003F44: 924028C0
	s_mul_i32 s65, 64, s43                                     // 000000003F48: 92412BC0
	s_lshr_b32 s76, s7, 6                                      // 000000003F4C: 8F4C8607
	s_lshl_b32 s76, s76, 6                                     // 000000003F50: 8E4C864C
	s_mov_b32 s67, 0x7060302                                   // 000000003F54: BEC300FF 07060302
	s_mov_b32 s68, 0x5040100                                   // 000000003F5C: BEC400FF 05040100
	s_mov_b32 s69, 0x5010400                                   // 000000003F64: BEC500FF 05010400
	s_mov_b32 s70, 0x7030602                                   // 000000003F6C: BEC600FF 07030602
	v_lshrrev_b32_e32 v16, 5, v0                               // 000000003F74: 20200085
	v_mul_i32_i24_e32 v30, 4, v16                              // 000000003F78: 0C3C2084
	s_mov_b32 s62, s7                                          // 000000003F7C: BEBE0007
	s_mov_b32 s63, 0                                           // 000000003F80: BEBF0080
	v_mov_b32_e32 v17, s61                                     // 000000003F84: 7E22023D
	v_mov_b32_e32 v16, s28                                     // 000000003F88: 7E20021C
	v_mul_f32_e32 v16, s61, v16                                // 000000003F8C: 0A20203D
	v_rcp_f32_e32 v17, v17                                     // 000000003F90: 7E224511
	v_mov_b32_e32 v22, 0                                       // 000000003F94: 7E2C0280
	v_mov_b32_e32 v28, 0xff7fffff                              // 000000003F98: 7E3802FF FF7FFFFF
	v_mov_b32_e32 v20, 0                                       // 000000003FA0: 7E280280
	v_mov_b32_e32 v22, 0                                       // 000000003FA4: 7E2C0280
	v_readfirstlane_b32 s74, v16                               // 000000003FA8: 7E940510
	v_readfirstlane_b32 s66, v17                               // 000000003FAC: 7E840511
	s_waitcnt lgkmcnt(0)                                       // 000000003FB0: BF8CC07F
	v_mov_b32_e32 v16, s37                                     // 000000003FB4: 7E200225
	v_mul_f32_e32 v16, s38, v16                                // 000000003FB8: 0A202026
	v_mul_f32_e32 v17, s74, v16                                // 000000003FBC: 0A22204A
	v_mul_f32_e32 v19, s28, v16                                // 000000003FC0: 0A26201C
	v_readfirstlane_b32 s74, v17                               // 000000003FC4: 7E940511
	v_readfirstlane_b32 s28, v19                               // 000000003FC8: 7E380513
	v_rcp_f32_e32 v16, v16                                     // 000000003FCC: 7E204510
	s_nop 1                                                    // 000000003FD0: BF800001
	v_mul_f32_e32 v16, v28, v16                                // 000000003FD4: 0A20211C
	v_max_f32_e32 v28, v28, v16                                // 000000003FD8: 1638211C
	s_mul_i32 s42, s4, s30                                     // 000000003FDC: 922A1E04
	v_and_b32_e32 v16, 31, v0                                  // 000000003FE0: 2620009F
	v_lshlrev_b32_e32 v8, 2, v16                               // 000000003FE4: 24102082
	v_lshrrev_b32_e32 v16, 5, v0                               // 000000003FE8: 20200085
	s_mul_i32 s34, 16, s41                                     // 000000003FEC: 92222990
	v_mul_i32_i24_e32 v16, s34, v16                            // 000000003FF0: 0C202022
	v_add_u32_e32 v8, v8, v16                                  // 000000003FF4: 68102108
	s_mul_i32 s34, s5, s41                                     // 000000003FF8: 92222905
	v_add_u32_e32 v8, s34, v8                                  // 000000003FFC: 68101022
	s_mul_i32 s35, 8, s41                                      // 000000004000: 92232988
	v_add_u32_e32 v9, s35, v8                                  // 000000004004: 68121023
	v_add_u32_e32 v8, s42, v8                                  // 000000004008: 6810102A
	v_add_u32_e32 v9, s42, v9                                  // 00000000400C: 6812122A
	s_mul_i32 s34, s5, 0x110                                   // 000000004010: 9222FF05 00000110
	s_add_u32 s55, 0x4400, s34                                 // 000000004018: 803722FF 00004400
	s_mov_b32 s75, s74                                         // 000000004020: BECB004A
	s_mov_b32 s34, 0                                           // 000000004024: BEA20080
	s_add_u32 m0, s34, s55                                     // 000000004028: 807C3722
	s_mul_i32 s34, 0, s41                                      // 00000000402C: 92222980
	v_add_u32_e32 v4, s34, v8                                  // 000000004030: 68081022
	v_add_u32_e32 v5, s34, v9                                  // 000000004034: 680A1222
	buffer_load_dword v4, s[8:11], s56 offen lds               // 000000004038: E0511000 38020004
	s_add_u32 m0, 0x880, m0                                    // 000000004040: 807C7CFF 00000880
	buffer_load_dword v5, s[8:11], s56 offen lds               // 000000004048: E0511000 38020005
	s_add_u32 m0, 0x880, m0                                    // 000000004050: 807C7CFF 00000880
	s_mov_b32 s34, 0x1100                                      // 000000004058: BEA200FF 00001100
	s_add_u32 m0, s34, s55                                     // 000000004060: 807C3722
	s_mul_i32 s34, 32, s41                                     // 000000004064: 922229A0
	v_add_u32_e32 v4, s34, v8                                  // 000000004068: 68081022
	v_add_u32_e32 v5, s34, v9                                  // 00000000406C: 680A1222
	buffer_load_dword v4, s[8:11], s56 offen lds               // 000000004070: E0511000 38020004
	s_add_u32 m0, 0x880, m0                                    // 000000004078: 807C7CFF 00000880
	buffer_load_dword v5, s[8:11], s56 offen lds               // 000000004080: E0511000 38020005
	s_add_u32 m0, 0x880, m0                                    // 000000004088: 807C7CFF 00000880
	s_mov_b32 s34, 0x2200                                      // 000000004090: BEA200FF 00002200
	s_add_u32 m0, s34, s55                                     // 000000004098: 807C3722
	s_mul_i32 s34, 64, s41                                     // 00000000409C: 922229C0
	v_add_u32_e32 v4, s34, v8                                  // 0000000040A0: 68081022
	v_add_u32_e32 v5, s34, v9                                  // 0000000040A4: 680A1222
	buffer_load_dword v4, s[8:11], s56 offen lds               // 0000000040A8: E0511000 38020004
	s_add_u32 m0, 0x880, m0                                    // 0000000040B0: 807C7CFF 00000880
	buffer_load_dword v5, s[8:11], s56 offen lds               // 0000000040B8: E0511000 38020005
	s_add_u32 m0, 0x880, m0                                    // 0000000040C0: 807C7CFF 00000880
	s_mov_b32 s34, 0x3300                                      // 0000000040C8: BEA200FF 00003300
	s_add_u32 m0, s34, s55                                     // 0000000040D0: 807C3722
	s_mul_i32 s34, 0x60, s41                                   // 0000000040D4: 922229FF 00000060
	v_add_u32_e32 v4, s34, v8                                  // 0000000040DC: 68081022
	v_add_u32_e32 v5, s34, v9                                  // 0000000040E0: 680A1222
	buffer_load_dword v4, s[8:11], s56 offen lds               // 0000000040E4: E0511000 38020004
	s_add_u32 m0, 0x880, m0                                    // 0000000040EC: 807C7CFF 00000880
	buffer_load_dword v5, s[8:11], s56 offen lds               // 0000000040F4: E0511000 38020005
	s_add_u32 m0, 0x880, m0                                    // 0000000040FC: 807C7CFF 00000880
	v_mov_b32_e32 v112, 0                                      // 000000004104: 7EE00280
	v_mov_b32_e32 v113, 0                                      // 000000004108: 7EE20280
	v_mov_b32_e32 v114, 0                                      // 00000000410C: 7EE40280
	v_mov_b32_e32 v115, 0                                      // 000000004110: 7EE60280
	v_mov_b32_e32 v116, 0                                      // 000000004114: 7EE80280
	v_mov_b32_e32 v117, 0                                      // 000000004118: 7EEA0280
	v_mov_b32_e32 v118, 0                                      // 00000000411C: 7EEC0280
	v_mov_b32_e32 v119, 0                                      // 000000004120: 7EEE0280
	v_mov_b32_e32 v120, 0                                      // 000000004124: 7EF00280
	v_mov_b32_e32 v121, 0                                      // 000000004128: 7EF20280
	v_mov_b32_e32 v122, 0                                      // 00000000412C: 7EF40280
	v_mov_b32_e32 v123, 0                                      // 000000004130: 7EF60280
	v_mov_b32_e32 v124, 0                                      // 000000004134: 7EF80280
	v_mov_b32_e32 v125, 0                                      // 000000004138: 7EFA0280
	v_mov_b32_e32 v126, 0                                      // 00000000413C: 7EFC0280
	v_mov_b32_e32 v127, 0                                      // 000000004140: 7EFE0280
	v_mov_b32_e32 v128, 0                                      // 000000004144: 7F000280
	v_mov_b32_e32 v129, 0                                      // 000000004148: 7F020280
	v_mov_b32_e32 v130, 0                                      // 00000000414C: 7F040280
	v_mov_b32_e32 v131, 0                                      // 000000004150: 7F060280
	v_mov_b32_e32 v132, 0                                      // 000000004154: 7F080280
	v_mov_b32_e32 v133, 0                                      // 000000004158: 7F0A0280
	v_mov_b32_e32 v134, 0                                      // 00000000415C: 7F0C0280
	v_mov_b32_e32 v135, 0                                      // 000000004160: 7F0E0280
	v_mov_b32_e32 v136, 0                                      // 000000004164: 7F100280
	v_mov_b32_e32 v137, 0                                      // 000000004168: 7F120280
	v_mov_b32_e32 v138, 0                                      // 00000000416C: 7F140280
	v_mov_b32_e32 v139, 0                                      // 000000004170: 7F160280
	v_mov_b32_e32 v140, 0                                      // 000000004174: 7F180280
	v_mov_b32_e32 v141, 0                                      // 000000004178: 7F1A0280
	v_mov_b32_e32 v142, 0                                      // 00000000417C: 7F1C0280
	v_mov_b32_e32 v143, 0                                      // 000000004180: 7F1E0280
	v_lshrrev_b32_e32 v16, 5, v0                               // 000000004184: 20200085
	v_mul_i32_i24_e32 v17, 4, v16                              // 000000004188: 0C222084
	v_and_b32_e32 v16, 15, v0                                  // 00000000418C: 2620008F
	v_mul_i32_i24_e32 v2, 0x44, v16                            // 000000004190: 0C0420FF 00000044
	v_add_u32_e32 v2, v2, v17                                  // 000000004198: 68042302
	v_and_b32_e32 v16, 31, v0                                  // 00000000419C: 2620009F
	v_lshrrev_b32_e32 v17, 4, v16                              // 0000000041A0: 20222084
	v_lshlrev_b32_e32 v16, 5, v17                              // 0000000041A4: 24202285
	v_add_u32_e32 v2, v2, v16                                  // 0000000041A8: 68042102
	v_lshlrev_b32_e32 v2, 2, v2                                // 0000000041AC: 24040482
	s_and_b32 s34, 3, s5                                       // 0000000041B0: 86220583
	s_mul_i32 s34, s34, 0x1100                                 // 0000000041B4: 9222FF22 00001100
	v_add_u32_e32 v2, s34, v2                                  // 0000000041BC: 68040422
	s_waitcnt vmcnt(0) expcnt(0) lgkmcnt(0)                    // 0000000041C0: BF8C0000
	s_barrier                                                  // 0000000041C4: BF8A0000
	s_cmp_lt_i32 s5, 4                                         // 0000000041C8: BF048405
	s_cbranch_scc0 label_01BC                                  // 0000000041CC: BF840008
	ds_read_b128 v[176:179], v2 offset:17408                   // 0000000041D0: D9FE4400 B0000002
	ds_read_b128 v[180:183], v2 offset:17440                   // 0000000041D8: D9FE4420 B4000002
	ds_read_b128 v[184:187], v2 offset:17472                   // 0000000041E0: D9FE4440 B8000002
	ds_read_b128 v[188:191], v2 offset:17504                   // 0000000041E8: D9FE4460 BC000002

00000000000041f0 <label_01BC>:
	s_waitcnt vmcnt(0) expcnt(0) lgkmcnt(0)                    // 0000000041F0: BF8C0000
	s_barrier                                                  // 0000000041F4: BF8A0000
	s_mov_b32 s34, 0                                           // 0000000041F8: BEA20080
	s_add_u32 m0, s34, s55                                     // 0000000041FC: 807C3722
	s_mul_i32 s34, 0x80, s41                                   // 000000004200: 922229FF 00000080
	v_add_u32_e32 v4, s34, v8                                  // 000000004208: 68081022
	v_add_u32_e32 v5, s34, v9                                  // 00000000420C: 680A1222
	buffer_load_dword v4, s[8:11], s56 offen lds               // 000000004210: E0511000 38020004
	s_add_u32 m0, 0x880, m0                                    // 000000004218: 807C7CFF 00000880
	buffer_load_dword v5, s[8:11], s56 offen lds               // 000000004220: E0511000 38020005
	s_add_u32 m0, 0x880, m0                                    // 000000004228: 807C7CFF 00000880
	s_mov_b32 s34, 0x1100                                      // 000000004230: BEA200FF 00001100
	s_add_u32 m0, s34, s55                                     // 000000004238: 807C3722
	s_mul_i32 s34, 0xa0, s41                                   // 00000000423C: 922229FF 000000A0
	v_add_u32_e32 v4, s34, v8                                  // 000000004244: 68081022
	v_add_u32_e32 v5, s34, v9                                  // 000000004248: 680A1222
	buffer_load_dword v4, s[8:11], s56 offen lds               // 00000000424C: E0511000 38020004
	s_add_u32 m0, 0x880, m0                                    // 000000004254: 807C7CFF 00000880
	buffer_load_dword v5, s[8:11], s56 offen lds               // 00000000425C: E0511000 38020005
	s_add_u32 m0, 0x880, m0                                    // 000000004264: 807C7CFF 00000880
	s_mov_b32 s34, 0x2200                                      // 00000000426C: BEA200FF 00002200
	s_add_u32 m0, s34, s55                                     // 000000004274: 807C3722
	s_mul_i32 s34, 0xc0, s41                                   // 000000004278: 922229FF 000000C0
	v_add_u32_e32 v4, s34, v8                                  // 000000004280: 68081022
	v_add_u32_e32 v5, s34, v9                                  // 000000004284: 680A1222
	buffer_load_dword v4, s[8:11], s56 offen lds               // 000000004288: E0511000 38020004
	s_add_u32 m0, 0x880, m0                                    // 000000004290: 807C7CFF 00000880
	buffer_load_dword v5, s[8:11], s56 offen lds               // 000000004298: E0511000 38020005
	s_add_u32 m0, 0x880, m0                                    // 0000000042A0: 807C7CFF 00000880
	s_mov_b32 s34, 0x3300                                      // 0000000042A8: BEA200FF 00003300
	s_add_u32 m0, s34, s55                                     // 0000000042B0: 807C3722
	s_mul_i32 s34, 0xe0, s41                                   // 0000000042B4: 922229FF 000000E0
	v_add_u32_e32 v4, s34, v8                                  // 0000000042BC: 68081022
	v_add_u32_e32 v5, s34, v9                                  // 0000000042C0: 680A1222
	buffer_load_dword v4, s[8:11], s56 offen lds               // 0000000042C4: E0511000 38020004
	s_add_u32 m0, 0x880, m0                                    // 0000000042CC: 807C7CFF 00000880
	buffer_load_dword v5, s[8:11], s56 offen lds               // 0000000042D4: E0511000 38020005
	s_add_u32 m0, 0x880, m0                                    // 0000000042DC: 807C7CFF 00000880
	v_mov_b32_e32 v144, 0                                      // 0000000042E4: 7F200280
	v_mov_b32_e32 v145, 0                                      // 0000000042E8: 7F220280
	v_mov_b32_e32 v146, 0                                      // 0000000042EC: 7F240280
	v_mov_b32_e32 v147, 0                                      // 0000000042F0: 7F260280
	v_mov_b32_e32 v148, 0                                      // 0000000042F4: 7F280280
	v_mov_b32_e32 v149, 0                                      // 0000000042F8: 7F2A0280
	v_mov_b32_e32 v150, 0                                      // 0000000042FC: 7F2C0280
	v_mov_b32_e32 v151, 0                                      // 000000004300: 7F2E0280
	v_mov_b32_e32 v152, 0                                      // 000000004304: 7F300280
	v_mov_b32_e32 v153, 0                                      // 000000004308: 7F320280
	v_mov_b32_e32 v154, 0                                      // 00000000430C: 7F340280
	v_mov_b32_e32 v155, 0                                      // 000000004310: 7F360280
	v_mov_b32_e32 v156, 0                                      // 000000004314: 7F380280
	v_mov_b32_e32 v157, 0                                      // 000000004318: 7F3A0280
	v_mov_b32_e32 v158, 0                                      // 00000000431C: 7F3C0280
	v_mov_b32_e32 v159, 0                                      // 000000004320: 7F3E0280
	v_mov_b32_e32 v160, 0                                      // 000000004324: 7F400280
	v_mov_b32_e32 v161, 0                                      // 000000004328: 7F420280
	v_mov_b32_e32 v162, 0                                      // 00000000432C: 7F440280
	v_mov_b32_e32 v163, 0                                      // 000000004330: 7F460280
	v_mov_b32_e32 v164, 0                                      // 000000004334: 7F480280
	v_mov_b32_e32 v165, 0                                      // 000000004338: 7F4A0280
	v_mov_b32_e32 v166, 0                                      // 00000000433C: 7F4C0280
	v_mov_b32_e32 v167, 0                                      // 000000004340: 7F4E0280
	v_mov_b32_e32 v168, 0                                      // 000000004344: 7F500280
	v_mov_b32_e32 v169, 0                                      // 000000004348: 7F520280
	v_mov_b32_e32 v170, 0                                      // 00000000434C: 7F540280
	v_mov_b32_e32 v171, 0                                      // 000000004350: 7F560280
	v_mov_b32_e32 v172, 0                                      // 000000004354: 7F580280
	v_mov_b32_e32 v173, 0                                      // 000000004358: 7F5A0280
	v_mov_b32_e32 v174, 0                                      // 00000000435C: 7F5C0280
	v_mov_b32_e32 v175, 0                                      // 000000004360: 7F5E0280
	s_cmp_le_u32 s7, 0                                         // 000000004364: BF0B8007
	s_cbranch_scc1 label_0FF4                                  // 000000004368: BF850DD9
	v_lshrrev_b32_e32 v16, 5, v0                               // 00000000436C: 20200085
	v_mul_i32_i24_e32 v17, 4, v16                              // 000000004370: 0C222084
	v_and_b32_e32 v16, 15, v0                                  // 000000004374: 2620008F
	v_mul_i32_i24_e32 v12, 0x44, v16                           // 000000004378: 0C1820FF 00000044
	v_add_u32_e32 v12, v12, v17                                // 000000004380: 6818230C
	v_and_b32_e32 v16, 31, v0                                  // 000000004384: 2620009F
	v_lshrrev_b32_e32 v17, 4, v16                              // 000000004388: 20222084
	v_lshlrev_b32_e32 v16, 5, v17                              // 00000000438C: 24202285
	v_add_u32_e32 v12, v12, v16                                // 000000004390: 6818210C
	v_lshlrev_b32_e32 v12, 2, v12                              // 000000004394: 24181882
	v_lshrrev_b32_e32 v16, 5, v0                               // 000000004398: 20200085
	v_mul_i32_i24_e32 v17, 32, v16                             // 00000000439C: 0C2220A0
	v_and_b32_e32 v16, 31, v0                                  // 0000000043A0: 2620009F
	v_lshrrev_b32_e32 v16, 2, v16                              // 0000000043A4: 20202082
	v_add_u32_e32 v13, v17, v16                                // 0000000043A8: 681A2111
	v_and_b32_e32 v16, 3, v0                                   // 0000000043AC: 26200083
	v_mul_i32_i24_e32 v16, 0x208, v16                          // 0000000043B0: 0C2020FF 00000208
	v_add_u32_e32 v13, v16, v13                                // 0000000043B8: 681A1B10
	v_lshlrev_b32_e32 v13, 2, v13                              // 0000000043BC: 241A1A82
	s_mul_i32 s34, s5, 64                                      // 0000000043C0: 9222C005
	v_add_u32_e32 v14, s34, v0                                 // 0000000043C4: 681C0022
	v_lshlrev_b32_e32 v14, 2, v14                              // 0000000043C8: 241C1C82
	v_and_b32_e32 v16, 31, v0                                  // 0000000043CC: 2620009F
	v_lshlrev_b32_e32 v4, 2, v16                               // 0000000043D0: 24082082
	v_lshrrev_b32_e32 v16, 5, v0                               // 0000000043D4: 20200085
	s_mul_i32 s34, 16, s40                                     // 0000000043D8: 92222890
	v_mul_i32_i24_e32 v16, s34, v16                            // 0000000043DC: 0C202022
	v_add_u32_e32 v4, v4, v16                                  // 0000000043E0: 68082104
	s_mul_i32 s34, s5, s40                                     // 0000000043E4: 92222805
	v_add_u32_e32 v4, s34, v4                                  // 0000000043E8: 68080822
	s_mul_i32 s35, 8, s40                                      // 0000000043EC: 92232888
	v_add_u32_e32 v5, s35, v4                                  // 0000000043F0: 680A0823
	s_mul_i32 s34, 32, s40                                     // 0000000043F4: 922228A0
	v_add_u32_e32 v6, s34, v4                                  // 0000000043F8: 680C0822
	v_add_u32_e32 v7, s34, v5                                  // 0000000043FC: 680E0A22
	s_mul_i32 s34, s5, 0x110                                   // 000000004400: 9222FF05 00000110
	s_add_u32 s54, 0, s34                                      // 000000004408: 80362280
	s_add_u32 s55, 0x2200, s54                                 // 00000000440C: 803736FF 00002200
	v_and_b32_e32 v16, 31, v0                                  // 000000004414: 2620009F
	v_lshlrev_b32_e32 v8, 2, v16                               // 000000004418: 24102082
	v_lshrrev_b32_e32 v16, 5, v0                               // 00000000441C: 20200085
	v_lshlrev_b32_e32 v16, 2, v16                              // 000000004420: 24202082
	v_mul_i32_i24_e32 v16, s43, v16                            // 000000004424: 0C20202B
	v_add_u32_e32 v8, v16, v8                                  // 000000004428: 68101110
	s_mul_i32 s35, 8, s5                                       // 00000000442C: 92230588
	s_mul_i32 s34, s35, s43                                    // 000000004430: 92222B23
	v_add_u32_e32 v8, s34, v8                                  // 000000004434: 68101022
	v_add_u32_e32 v9, s43, v8                                  // 000000004438: 6812102B
	v_add_u32_e32 v10, s43, v9                                 // 00000000443C: 6814122B
	v_add_u32_e32 v11, s43, v10                                // 000000004440: 6816142B
	s_waitcnt vmcnt(0) expcnt(0) lgkmcnt(0)                    // 000000004444: BF8C0000
	s_barrier                                                  // 000000004448: BF8A0000
	s_cmp_lt_i32 s5, 4                                         // 00000000444C: BF048405
	s_cbranch_scc1 label_025D                                  // 000000004450: BF850008
	ds_read_b128 v[176:179], v2 offset:17408                   // 000000004454: D9FE4400 B0000002
	ds_read_b128 v[180:183], v2 offset:17440                   // 00000000445C: D9FE4420 B4000002
	ds_read_b128 v[184:187], v2 offset:17472                   // 000000004464: D9FE4440 B8000002
	ds_read_b128 v[188:191], v2 offset:17504                   // 00000000446C: D9FE4460 BC000002

0000000000004474 <label_025D>:
	s_waitcnt vmcnt(0) expcnt(0) lgkmcnt(0)                    // 000000004474: BF8C0000
	s_barrier                                                  // 000000004478: BF8A0000
	s_mov_b32 m0, s54                                          // 00000000447C: BEFC0036
	buffer_load_dword v4, s[12:15], s57 offen lds              // 000000004480: E0511000 39030004
	s_add_u32 m0, 0x880, m0                                    // 000000004488: 807C7CFF 00000880
	buffer_load_dword v5, s[12:15], s57 offen lds              // 000000004490: E0511000 39030005
	s_add_u32 m0, 0x880, m0                                    // 000000004498: 807C7CFF 00000880
	buffer_load_dword v6, s[12:15], s57 offen lds              // 0000000044A0: E0511000 39030006
	s_add_u32 m0, 0x880, m0                                    // 0000000044A8: 807C7CFF 00000880
	buffer_load_dword v7, s[12:15], s57 offen lds              // 0000000044B0: E0511000 39030007
	s_add_u32 m0, 0x880, m0                                    // 0000000044B8: 807C7CFF 00000880
	s_add_i32 s57, s64, s57                                    // 0000000044C0: 81393940
	s_waitcnt vmcnt(0)                                         // 0000000044C4: BF8C0F70
	s_barrier                                                  // 0000000044C8: BF8A0000
	ds_read_b128 v[192:195], v12                               // 0000000044CC: D9FE0000 C000000C
	ds_read_b128 v[196:199], v12 offset:32                     // 0000000044D4: D9FE0020 C400000C
	ds_read_b128 v[200:203], v12 offset:64                     // 0000000044DC: D9FE0040 C800000C
	ds_read_b128 v[204:207], v12 offset:96                     // 0000000044E4: D9FE0060 CC00000C
	ds_read_b128 v[208:211], v12 offset:4352                   // 0000000044EC: D9FE1100 D000000C
	ds_read_b128 v[212:215], v12 offset:4384                   // 0000000044F4: D9FE1120 D400000C
	ds_read_b128 v[216:219], v12 offset:4416                   // 0000000044FC: D9FE1140 D800000C
	ds_read_b128 v[220:223], v12 offset:4448                   // 000000004504: D9FE1160 DC00000C
	s_waitcnt lgkmcnt(0)                                       // 00000000450C: BF8CC07F
	s_barrier                                                  // 000000004510: BF8A0000
	s_mov_b32 m0, s55                                          // 000000004514: BEFC0037
	s_nop 0                                                    // 000000004518: BF800000
	v_mfma_f32_32x32x16_fp8_fp8 v[48:63], v[192:193], v[176:177], 0// 00000000451C: D3F70030 020361C0
	buffer_load_dword v4, s[12:15], s57 offen lds              // 000000004524: E0511000 39030004
	s_add_u32 m0, 0x880, m0                                    // 00000000452C: 807C7CFF 00000880
	v_mfma_f32_32x32x16_fp8_fp8 v[48:63], v[194:195], v[178:179], v[48:63]// 000000004534: D3F70030 04C365C2
	v_mfma_f32_32x32x16_fp8_fp8 v[48:63], v[196:197], v[180:181], v[48:63]// 00000000453C: D3F70030 04C369C4
	buffer_load_dword v5, s[12:15], s57 offen lds              // 000000004544: E0511000 39030005
	s_add_u32 m0, 0x880, m0                                    // 00000000454C: 807C7CFF 00000880
	v_mfma_f32_32x32x16_fp8_fp8 v[48:63], v[198:199], v[182:183], v[48:63]// 000000004554: D3F70030 04C36DC6
	v_mfma_f32_32x32x16_fp8_fp8 v[48:63], v[200:201], v[184:185], v[48:63]// 00000000455C: D3F70030 04C371C8
	buffer_load_dword v6, s[12:15], s57 offen lds              // 000000004564: E0511000 39030006
	s_add_u32 m0, 0x880, m0                                    // 00000000456C: 807C7CFF 00000880
	v_mfma_f32_32x32x16_fp8_fp8 v[48:63], v[202:203], v[186:187], v[48:63]// 000000004574: D3F70030 04C375CA
	v_mfma_f32_32x32x16_fp8_fp8 v[48:63], v[204:205], v[188:189], v[48:63]// 00000000457C: D3F70030 04C379CC
	buffer_load_dword v7, s[12:15], s57 offen lds              // 000000004584: E0511000 39030007
	s_add_u32 m0, 0x880, m0                                    // 00000000458C: 807C7CFF 00000880
	v_mfma_f32_32x32x16_fp8_fp8 v[48:63], v[206:207], v[190:191], v[48:63]// 000000004594: D3F70030 04C37DCE
	v_mfma_f32_32x32x16_fp8_fp8 v[64:79], v[208:209], v[176:177], 0// 00000000459C: D3F70040 020361D0
	buffer_load_dword v224, v8, s[16:19], s32 offen            // 0000000045A4: E0501000 2004E008
	v_mfma_f32_32x32x16_fp8_fp8 v[64:79], v[210:211], v[178:179], v[64:79]// 0000000045AC: D3F70040 050365D2
	v_mfma_f32_32x32x16_fp8_fp8 v[64:79], v[212:213], v[180:181], v[64:79]// 0000000045B4: D3F70040 050369D4
	buffer_load_dword v225, v9, s[16:19], s32 offen            // 0000000045BC: E0501000 2004E109
	v_mfma_f32_32x32x16_fp8_fp8 v[64:79], v[214:215], v[182:183], v[64:79]// 0000000045C4: D3F70040 05036DD6
	v_mfma_f32_32x32x16_fp8_fp8 v[64:79], v[216:217], v[184:185], v[64:79]// 0000000045CC: D3F70040 050371D8
	buffer_load_dword v226, v10, s[16:19], s32 offen           // 0000000045D4: E0501000 2004E20A
	v_mfma_f32_32x32x16_fp8_fp8 v[64:79], v[218:219], v[186:187], v[64:79]// 0000000045DC: D3F70040 050375DA
	v_mfma_f32_32x32x16_fp8_fp8 v[64:79], v[220:221], v[188:189], v[64:79]// 0000000045E4: D3F70040 050379DC
	buffer_load_dword v227, v11, s[16:19], s32 offen           // 0000000045EC: E0501000 2004E30B
	v_mfma_f32_32x32x16_fp8_fp8 v[64:79], v[222:223], v[190:191], v[64:79]// 0000000045F4: D3F70040 05037DDE
	s_add_i32 s57, s64, s57                                    // 0000000045FC: 81393940
	s_add_i32 s32, s65, s32                                    // 000000004600: 81202041
	s_cmp_lt_i32 s72, s76                                      // 000000004604: BF044C48
	s_cbranch_scc1 label_0346                                  // 000000004608: BF850083
	s_sub_i32 s34, s7, s72                                     // 00000000460C: 81A24807
	v_sub_i32 v16, s34, v30                                    // 000000004610: D29D0010 00023C22
	v_cmp_lt_i32_e64 s[50:51], 0, v16                          // 000000004618: D0C10032 00022080
	v_cmp_lt_i32_e64 s[52:53], 1, v16                          // 000000004620: D0C10034 00022081
	v_cndmask_b32_e64 v48, v31, v48, s[50:51]                  // 000000004628: D1000030 00CA611F
	v_cndmask_b32_e64 v49, v31, v49, s[52:53]                  // 000000004630: D1000031 00D2631F
	v_cmp_lt_i32_e64 s[50:51], 2, v16                          // 000000004638: D0C10032 00022082
	v_cmp_lt_i32_e64 s[52:53], 3, v16                          // 000000004640: D0C10034 00022083
	v_cndmask_b32_e64 v50, v31, v50, s[50:51]                  // 000000004648: D1000032 00CA651F
	v_cndmask_b32_e64 v51, v31, v51, s[52:53]                  // 000000004650: D1000033 00D2671F
	v_cmp_lt_i32_e64 s[50:51], 8, v16                          // 000000004658: D0C10032 00022088
	v_cmp_lt_i32_e64 s[52:53], 9, v16                          // 000000004660: D0C10034 00022089
	v_cndmask_b32_e64 v52, v31, v52, s[50:51]                  // 000000004668: D1000034 00CA691F
	v_cndmask_b32_e64 v53, v31, v53, s[52:53]                  // 000000004670: D1000035 00D26B1F
	v_cmp_lt_i32_e64 s[50:51], 10, v16                         // 000000004678: D0C10032 0002208A
	v_cmp_lt_i32_e64 s[52:53], 11, v16                         // 000000004680: D0C10034 0002208B
	v_cndmask_b32_e64 v54, v31, v54, s[50:51]                  // 000000004688: D1000036 00CA6D1F
	v_cndmask_b32_e64 v55, v31, v55, s[52:53]                  // 000000004690: D1000037 00D26F1F
	v_cmp_lt_i32_e64 s[50:51], 16, v16                         // 000000004698: D0C10032 00022090
	v_cmp_lt_i32_e64 s[52:53], 17, v16                         // 0000000046A0: D0C10034 00022091
	v_cndmask_b32_e64 v56, v31, v56, s[50:51]                  // 0000000046A8: D1000038 00CA711F
	v_cndmask_b32_e64 v57, v31, v57, s[52:53]                  // 0000000046B0: D1000039 00D2731F
	v_cmp_lt_i32_e64 s[50:51], 18, v16                         // 0000000046B8: D0C10032 00022092
	v_cmp_lt_i32_e64 s[52:53], 19, v16                         // 0000000046C0: D0C10034 00022093
	v_cndmask_b32_e64 v58, v31, v58, s[50:51]                  // 0000000046C8: D100003A 00CA751F
	v_cndmask_b32_e64 v59, v31, v59, s[52:53]                  // 0000000046D0: D100003B 00D2771F
	v_cmp_lt_i32_e64 s[50:51], 24, v16                         // 0000000046D8: D0C10032 00022098
	v_cmp_lt_i32_e64 s[52:53], 25, v16                         // 0000000046E0: D0C10034 00022099
	v_cndmask_b32_e64 v60, v31, v60, s[50:51]                  // 0000000046E8: D100003C 00CA791F
	v_cndmask_b32_e64 v61, v31, v61, s[52:53]                  // 0000000046F0: D100003D 00D27B1F
	v_cmp_lt_i32_e64 s[50:51], 26, v16                         // 0000000046F8: D0C10032 0002209A
	v_cmp_lt_i32_e64 s[52:53], 27, v16                         // 000000004700: D0C10034 0002209B
	v_cndmask_b32_e64 v62, v31, v62, s[50:51]                  // 000000004708: D100003E 00CA7D1F
	v_cndmask_b32_e64 v63, v31, v63, s[52:53]                  // 000000004710: D100003F 00D27F1F
	v_cmp_lt_i32_e64 s[50:51], 32, v16                         // 000000004718: D0C10032 000220A0
	v_cmp_lt_i32_e64 s[52:53], 33, v16                         // 000000004720: D0C10034 000220A1
	v_cndmask_b32_e64 v64, v31, v64, s[50:51]                  // 000000004728: D1000040 00CA811F
	v_cndmask_b32_e64 v65, v31, v65, s[52:53]                  // 000000004730: D1000041 00D2831F
	v_cmp_lt_i32_e64 s[50:51], 34, v16                         // 000000004738: D0C10032 000220A2
	v_cmp_lt_i32_e64 s[52:53], 35, v16                         // 000000004740: D0C10034 000220A3
	v_cndmask_b32_e64 v66, v31, v66, s[50:51]                  // 000000004748: D1000042 00CA851F
	v_cndmask_b32_e64 v67, v31, v67, s[52:53]                  // 000000004750: D1000043 00D2871F
	v_cmp_lt_i32_e64 s[50:51], 40, v16                         // 000000004758: D0C10032 000220A8
	v_cmp_lt_i32_e64 s[52:53], 41, v16                         // 000000004760: D0C10034 000220A9
	v_cndmask_b32_e64 v68, v31, v68, s[50:51]                  // 000000004768: D1000044 00CA891F
	v_cndmask_b32_e64 v69, v31, v69, s[52:53]                  // 000000004770: D1000045 00D28B1F
	v_cmp_lt_i32_e64 s[50:51], 42, v16                         // 000000004778: D0C10032 000220AA
	v_cmp_lt_i32_e64 s[52:53], 43, v16                         // 000000004780: D0C10034 000220AB
	v_cndmask_b32_e64 v70, v31, v70, s[50:51]                  // 000000004788: D1000046 00CA8D1F
	v_cndmask_b32_e64 v71, v31, v71, s[52:53]                  // 000000004790: D1000047 00D28F1F
	v_cmp_lt_i32_e64 s[50:51], 48, v16                         // 000000004798: D0C10032 000220B0
	v_cmp_lt_i32_e64 s[52:53], 49, v16                         // 0000000047A0: D0C10034 000220B1
	v_cndmask_b32_e64 v72, v31, v72, s[50:51]                  // 0000000047A8: D1000048 00CA911F
	v_cndmask_b32_e64 v73, v31, v73, s[52:53]                  // 0000000047B0: D1000049 00D2931F
	v_cmp_lt_i32_e64 s[50:51], 50, v16                         // 0000000047B8: D0C10032 000220B2
	v_cmp_lt_i32_e64 s[52:53], 51, v16                         // 0000000047C0: D0C10034 000220B3
	v_cndmask_b32_e64 v74, v31, v74, s[50:51]                  // 0000000047C8: D100004A 00CA951F
	v_cndmask_b32_e64 v75, v31, v75, s[52:53]                  // 0000000047D0: D100004B 00D2971F
	v_cmp_lt_i32_e64 s[50:51], 56, v16                         // 0000000047D8: D0C10032 000220B8
	v_cmp_lt_i32_e64 s[52:53], 57, v16                         // 0000000047E0: D0C10034 000220B9
	v_cndmask_b32_e64 v76, v31, v76, s[50:51]                  // 0000000047E8: D100004C 00CA991F
	v_cndmask_b32_e64 v77, v31, v77, s[52:53]                  // 0000000047F0: D100004D 00D29B1F
	v_cmp_lt_i32_e64 s[50:51], 58, v16                         // 0000000047F8: D0C10032 000220BA
	v_cmp_lt_i32_e64 s[52:53], 59, v16                         // 000000004800: D0C10034 000220BB
	v_cndmask_b32_e64 v78, v31, v78, s[50:51]                  // 000000004808: D100004E 00CA9D1F
	v_cndmask_b32_e64 v79, v31, v79, s[52:53]                  // 000000004810: D100004F 00D29F1F

0000000000004818 <label_0346>:
	v_max3_f32 v25, v48, v49, v28                              // 000000004818: D1D30019 04726330
	v_max3_f32 v25, v50, v51, v25                              // 000000004820: D1D30019 04666732
	v_max3_f32 v25, v52, v53, v25                              // 000000004828: D1D30019 04666B34
	v_max3_f32 v25, v54, v55, v25                              // 000000004830: D1D30019 04666F36
	v_max3_f32 v25, v56, v57, v25                              // 000000004838: D1D30019 04667338
	v_max3_f32 v25, v58, v59, v25                              // 000000004840: D1D30019 0466773A
	v_max3_f32 v25, v60, v61, v25                              // 000000004848: D1D30019 04667B3C
	v_max3_f32 v25, v62, v63, v25                              // 000000004850: D1D30019 04667F3E
	v_max3_f32 v25, v64, v65, v25                              // 000000004858: D1D30019 04668340
	v_max3_f32 v25, v66, v67, v25                              // 000000004860: D1D30019 04668742
	v_max3_f32 v25, v68, v69, v25                              // 000000004868: D1D30019 04668B44
	v_max3_f32 v25, v70, v71, v25                              // 000000004870: D1D30019 04668F46
	v_max3_f32 v25, v72, v73, v25                              // 000000004878: D1D30019 04669348
	v_max3_f32 v25, v74, v75, v25                              // 000000004880: D1D30019 0466974A
	v_max3_f32 v25, v76, v77, v25                              // 000000004888: D1D30019 04669B4C
	v_max3_f32 v25, v78, v79, v25                              // 000000004890: D1D30019 04669F4E
	ds_permute_b32 v24, v32, v25                               // 000000004898: D87C0000 18001920
	v_nop                                                      // 0000000048A0: 7E000000
	s_nop 0                                                    // 0000000048A4: BF800000
	v_nop                                                      // 0000000048A8: 7E000000
	s_waitcnt lgkmcnt(0)                                       // 0000000048AC: BF8CC07F
	v_max_f32_e32 v25, v24, v25                                // 0000000048B0: 16323318
	v_mov_b32_e32 v20, 0                                       // 0000000048B4: 7E280280
	v_mov_b32_e32 v28, v25                                     // 0000000048B8: 7E380319
	v_mul_f32_e32 v27, s74, v25                                // 0000000048BC: 0A36324A
	v_mul_f32_e32 v20, s74, v20                                // 0000000048C0: 0A28284A
	v_exp_f32_e32 v20, v20                                     // 0000000048C4: 7E284114
	v_fma_f32 v48, v48, s74, -v27                              // 0000000048C8: D1CB0030 846C9530
	v_fma_f32 v49, v49, s74, -v27                              // 0000000048D0: D1CB0031 846C9531
	v_fma_f32 v50, v50, s74, -v27                              // 0000000048D8: D1CB0032 846C9532
	v_fma_f32 v51, v51, s74, -v27                              // 0000000048E0: D1CB0033 846C9533
	v_fma_f32 v52, v52, s74, -v27                              // 0000000048E8: D1CB0034 846C9534
	v_fma_f32 v53, v53, s74, -v27                              // 0000000048F0: D1CB0035 846C9535
	v_fma_f32 v54, v54, s74, -v27                              // 0000000048F8: D1CB0036 846C9536
	v_fma_f32 v55, v55, s74, -v27                              // 000000004900: D1CB0037 846C9537
	v_fma_f32 v56, v56, s74, -v27                              // 000000004908: D1CB0038 846C9538
	v_fma_f32 v57, v57, s74, -v27                              // 000000004910: D1CB0039 846C9539
	v_fma_f32 v58, v58, s74, -v27                              // 000000004918: D1CB003A 846C953A
	v_fma_f32 v59, v59, s74, -v27                              // 000000004920: D1CB003B 846C953B
	v_fma_f32 v60, v60, s74, -v27                              // 000000004928: D1CB003C 846C953C
	v_fma_f32 v61, v61, s74, -v27                              // 000000004930: D1CB003D 846C953D
	v_fma_f32 v62, v62, s74, -v27                              // 000000004938: D1CB003E 846C953E
	v_fma_f32 v63, v63, s74, -v27                              // 000000004940: D1CB003F 846C953F
	v_fma_f32 v64, v64, s74, -v27                              // 000000004948: D1CB0040 846C9540
	v_fma_f32 v65, v65, s74, -v27                              // 000000004950: D1CB0041 846C9541
	v_fma_f32 v66, v66, s74, -v27                              // 000000004958: D1CB0042 846C9542
	v_fma_f32 v67, v67, s74, -v27                              // 000000004960: D1CB0043 846C9543
	v_fma_f32 v68, v68, s74, -v27                              // 000000004968: D1CB0044 846C9544
	v_fma_f32 v69, v69, s74, -v27                              // 000000004970: D1CB0045 846C9545
	v_fma_f32 v70, v70, s74, -v27                              // 000000004978: D1CB0046 846C9546
	v_fma_f32 v71, v71, s74, -v27                              // 000000004980: D1CB0047 846C9547
	v_fma_f32 v72, v72, s74, -v27                              // 000000004988: D1CB0048 846C9548
	v_fma_f32 v73, v73, s74, -v27                              // 000000004990: D1CB0049 846C9549
	v_fma_f32 v74, v74, s74, -v27                              // 000000004998: D1CB004A 846C954A
	v_fma_f32 v75, v75, s74, -v27                              // 0000000049A0: D1CB004B 846C954B
	v_fma_f32 v76, v76, s74, -v27                              // 0000000049A8: D1CB004C 846C954C
	v_fma_f32 v77, v77, s74, -v27                              // 0000000049B0: D1CB004D 846C954D
	v_fma_f32 v78, v78, s74, -v27                              // 0000000049B8: D1CB004E 846C954E
	v_fma_f32 v79, v79, s74, -v27                              // 0000000049C0: D1CB004F 846C954F
	v_exp_f32_e32 v48, v48                                     // 0000000049C8: 7E604130
	v_exp_f32_e32 v49, v49                                     // 0000000049CC: 7E624131
	v_exp_f32_e32 v50, v50                                     // 0000000049D0: 7E644132
	v_exp_f32_e32 v51, v51                                     // 0000000049D4: 7E664133
	v_exp_f32_e32 v52, v52                                     // 0000000049D8: 7E684134
	v_exp_f32_e32 v53, v53                                     // 0000000049DC: 7E6A4135
	v_exp_f32_e32 v54, v54                                     // 0000000049E0: 7E6C4136
	v_exp_f32_e32 v55, v55                                     // 0000000049E4: 7E6E4137
	s_addk_i32 s63, 0x40                                       // 0000000049E8: B73F0040
	s_add_i32 s72, s72, s73                                    // 0000000049EC: 81484948
	s_mov_b32 m0, s54                                          // 0000000049F0: BEFC0036
	buffer_load_dword v4, s[12:15], s57 offen lds              // 0000000049F4: E0511000 39030004
	s_add_u32 m0, 0x880, m0                                    // 0000000049FC: 807C7CFF 00000880
	buffer_load_dword v5, s[12:15], s57 offen lds              // 000000004A04: E0511000 39030005
	s_add_u32 m0, 0x880, m0                                    // 000000004A0C: 807C7CFF 00000880
	buffer_load_dword v6, s[12:15], s57 offen lds              // 000000004A14: E0511000 39030006
	s_add_u32 m0, 0x880, m0                                    // 000000004A1C: 807C7CFF 00000880
	buffer_load_dword v7, s[12:15], s57 offen lds              // 000000004A24: E0511000 39030007
	s_add_u32 m0, 0x880, m0                                    // 000000004A2C: 807C7CFF 00000880
	s_add_i32 s57, s64, s57                                    // 000000004A34: 81393940
	s_waitcnt vmcnt(8)                                         // 000000004A38: BF8C0F78
	s_barrier                                                  // 000000004A3C: BF8A0000
	s_cmp_lt_i32 s63, s62                                      // 000000004A40: BF043E3F
	s_cbranch_scc0 label_0DBC                                  // 000000004A44: BF8409EA
	s_cmp_lt_i32 s5, 4                                         // 000000004A48: BF048405
	s_cbranch_scc0 label_08D6                                  // 000000004A4C: BF840502
	buffer_load_dword v228, v8, s[16:19], s32 offen            // 000000004A50: E0501000 2004E408
	buffer_load_dword v229, v9, s[16:19], s32 offen            // 000000004A58: E0501000 2004E509
	buffer_load_dword v230, v10, s[16:19], s32 offen           // 000000004A60: E0501000 2004E60A
	buffer_load_dword v231, v11, s[16:19], s32 offen           // 000000004A68: E0501000 2004E70B
	s_add_i32 s32, s65, s32                                    // 000000004A70: 81202041
	ds_read_b128 v[192:195], v12 offset:8704                   // 000000004A74: D9FE2200 C000000C
	ds_read_b128 v[196:199], v12 offset:8736                   // 000000004A7C: D9FE2220 C400000C
	ds_read_b128 v[200:203], v12 offset:8768                   // 000000004A84: D9FE2240 C800000C
	ds_read_b128 v[204:207], v12 offset:8800                   // 000000004A8C: D9FE2260 CC00000C
	ds_read_b128 v[208:211], v12 offset:13056                  // 000000004A94: D9FE3300 D000000C
	ds_read_b128 v[212:215], v12 offset:13088                  // 000000004A9C: D9FE3320 D400000C
	ds_read_b128 v[216:219], v12 offset:13120                  // 000000004AA4: D9FE3340 D800000C
	ds_read_b128 v[220:223], v12 offset:13152                  // 000000004AAC: D9FE3360 DC00000C
	s_setprio 0                                                // 000000004AB4: BF8F0000
	s_barrier                                                  // 000000004AB8: BF8A0000

0000000000004abc <label_03EF>:
	s_barrier                                                  // 000000004ABC: BF8A0000
	s_waitcnt lgkmcnt(0)                                       // 000000004AC0: BF8CC07F
	v_mfma_f32_32x32x16_fp8_fp8 v[80:95], v[192:193], v[176:177], 0// 000000004AC4: D3F70050 020361C0
	v_exp_f32_e32 v56, v56                                     // 000000004ACC: 7E704138
	v_exp_f32_e32 v57, v57                                     // 000000004AD0: 7E724139
	v_mfma_f32_32x32x16_fp8_fp8 v[80:95], v[194:195], v[178:179], v[80:95]// 000000004AD4: D3F70050 054365C2
	v_exp_f32_e32 v58, v58                                     // 000000004ADC: 7E74413A
	v_exp_f32_e32 v59, v59                                     // 000000004AE0: 7E76413B
	v_mfma_f32_32x32x16_fp8_fp8 v[80:95], v[196:197], v[180:181], v[80:95]// 000000004AE4: D3F70050 054369C4
	v_exp_f32_e32 v60, v60                                     // 000000004AEC: 7E78413C
	v_exp_f32_e32 v61, v61                                     // 000000004AF0: 7E7A413D
	v_mfma_f32_32x32x16_fp8_fp8 v[80:95], v[198:199], v[182:183], v[80:95]// 000000004AF4: D3F70050 05436DC6
	v_exp_f32_e32 v62, v62                                     // 000000004AFC: 7E7C413E
	v_exp_f32_e32 v63, v63                                     // 000000004B00: 7E7E413F
	v_mfma_f32_32x32x16_fp8_fp8 v[80:95], v[200:201], v[184:185], v[80:95]// 000000004B04: D3F70050 054371C8
	v_exp_f32_e32 v64, v64                                     // 000000004B0C: 7E804140
	v_exp_f32_e32 v65, v65                                     // 000000004B10: 7E824141
	v_mfma_f32_32x32x16_fp8_fp8 v[80:95], v[202:203], v[186:187], v[80:95]// 000000004B14: D3F70050 054375CA
	v_exp_f32_e32 v66, v66                                     // 000000004B1C: 7E844142
	v_exp_f32_e32 v67, v67                                     // 000000004B20: 7E864143
	v_mfma_f32_32x32x16_fp8_fp8 v[80:95], v[204:205], v[188:189], v[80:95]// 000000004B24: D3F70050 054379CC
	v_exp_f32_e32 v68, v68                                     // 000000004B2C: 7E884144
	v_exp_f32_e32 v69, v69                                     // 000000004B30: 7E8A4145
	v_mfma_f32_32x32x16_fp8_fp8 v[80:95], v[206:207], v[190:191], v[80:95]// 000000004B34: D3F70050 05437DCE
	v_exp_f32_e32 v70, v70                                     // 000000004B3C: 7E8C4146
	v_exp_f32_e32 v71, v71                                     // 000000004B40: 7E8E4147
	v_mfma_f32_32x32x16_fp8_fp8 v[96:111], v[208:209], v[176:177], 0// 000000004B44: D3F70060 020361D0
	v_exp_f32_e32 v72, v72                                     // 000000004B4C: 7E904148
	v_exp_f32_e32 v73, v73                                     // 000000004B50: 7E924149
	v_mfma_f32_32x32x16_fp8_fp8 v[96:111], v[210:211], v[178:179], v[96:111]// 000000004B54: D3F70060 058365D2
	v_exp_f32_e32 v74, v74                                     // 000000004B5C: 7E94414A
	v_exp_f32_e32 v75, v75                                     // 000000004B60: 7E96414B
	v_mfma_f32_32x32x16_fp8_fp8 v[96:111], v[212:213], v[180:181], v[96:111]// 000000004B64: D3F70060 058369D4
	v_exp_f32_e32 v76, v76                                     // 000000004B6C: 7E98414C
	v_exp_f32_e32 v77, v77                                     // 000000004B70: 7E9A414D
	v_mfma_f32_32x32x16_fp8_fp8 v[96:111], v[214:215], v[182:183], v[96:111]// 000000004B74: D3F70060 05836DD6
	s_waitcnt vmcnt(8)                                         // 000000004B7C: BF8C0F78
	s_barrier                                                  // 000000004B80: BF8A0000
	v_mfma_f32_32x32x16_fp8_fp8 v[96:111], v[216:217], v[184:185], v[96:111]// 000000004B84: D3F70060 058371D8
	v_exp_f32_e32 v78, v78                                     // 000000004B8C: 7E9C414E
	v_exp_f32_e32 v79, v79                                     // 000000004B90: 7E9E414F
	v_mfma_f32_32x32x16_fp8_fp8 v[96:111], v[218:219], v[186:187], v[96:111]// 000000004B94: D3F70060 058375DA
	v_mul_f32_e32 v22, v20, v22                                // 000000004B9C: 0A2C2D14
	v_add_f32_e32 v38, v49, v48                                // 000000004BA0: 024C6131
	v_add_f32_e32 v38, v50, v38                                // 000000004BA4: 024C4D32
	v_add_f32_e32 v38, v51, v38                                // 000000004BA8: 024C4D33
	v_mfma_f32_32x32x16_fp8_fp8 v[96:111], v[220:221], v[188:189], v[96:111]// 000000004BAC: D3F70060 058379DC
	v_add_f32_e32 v38, v52, v38                                // 000000004BB4: 024C4D34
	v_add_f32_e32 v38, v53, v38                                // 000000004BB8: 024C4D35
	v_add_f32_e32 v38, v54, v38                                // 000000004BBC: 024C4D36
	v_add_f32_e32 v38, v55, v38                                // 000000004BC0: 024C4D37
	v_add_f32_e32 v38, v56, v38                                // 000000004BC4: 024C4D38
	v_add_f32_e32 v38, v57, v38                                // 000000004BC8: 024C4D39
	v_add_f32_e32 v38, v58, v38                                // 000000004BCC: 024C4D3A
	v_mfma_f32_32x32x16_fp8_fp8 v[96:111], v[222:223], v[190:191], v[96:111]// 000000004BD0: D3F70060 05837DDE
	v_perm_b32 v16, v225, v224, s69                            // 000000004BD8: D1ED0010 0117C1E1
	v_perm_b32 v17, v225, v224, s70                            // 000000004BE0: D1ED0011 011BC1E1
	v_perm_b32 v18, v227, v226, s69                            // 000000004BE8: D1ED0012 0117C5E3
	v_perm_b32 v19, v227, v226, s70                            // 000000004BF0: D1ED0013 011BC5E3
	v_perm_b32 v232, v18, v16, s68                             // 000000004BF8: D1ED00E8 01122112
	v_perm_b32 v233, v18, v16, s67                             // 000000004C00: D1ED00E9 010E2112
	v_perm_b32 v234, v19, v17, s68                             // 000000004C08: D1ED00EA 01122313
	v_perm_b32 v235, v19, v17, s67                             // 000000004C10: D1ED00EB 010E2313
	v_add_f32_e32 v38, v59, v38                                // 000000004C18: 024C4D3B
	v_add_f32_e32 v38, v60, v38                                // 000000004C1C: 024C4D3C
	v_add_f32_e32 v38, v61, v38                                // 000000004C20: 024C4D3D
	v_add_f32_e32 v38, v62, v38                                // 000000004C24: 024C4D3E
	v_add_f32_e32 v38, v63, v38                                // 000000004C28: 024C4D3F
	v_add_f32_e32 v38, v64, v38                                // 000000004C2C: 024C4D40
	v_add_f32_e32 v38, v65, v38                                // 000000004C30: 024C4D41
	v_add_f32_e32 v38, v66, v38                                // 000000004C34: 024C4D42
	v_add_f32_e32 v38, v67, v38                                // 000000004C38: 024C4D43
	v_add_f32_e32 v38, v68, v38                                // 000000004C3C: 024C4D44
	v_add_f32_e32 v38, v69, v38                                // 000000004C40: 024C4D45
	v_add_f32_e32 v38, v70, v38                                // 000000004C44: 024C4D46
	v_add_f32_e32 v38, v71, v38                                // 000000004C48: 024C4D47
	v_add_f32_e32 v38, v72, v38                                // 000000004C4C: 024C4D48
	v_add_f32_e32 v38, v73, v38                                // 000000004C50: 024C4D49
	v_add_f32_e32 v38, v74, v38                                // 000000004C54: 024C4D4A
	v_add_f32_e32 v38, v75, v38                                // 000000004C58: 024C4D4B
	v_add_f32_e32 v38, v76, v38                                // 000000004C5C: 024C4D4C
	v_add_f32_e32 v38, v77, v38                                // 000000004C60: 024C4D4D
	v_add_f32_e32 v38, v78, v38                                // 000000004C64: 024C4D4E
	v_add_f32_e32 v38, v79, v38                                // 000000004C68: 024C4D4F
	v_add_f32_e32 v22, v38, v22                                // 000000004C6C: 022C2D26
	v_cvt_pk_fp8_f32 v48, v48, v49                             // 000000004C70: D2A20030 00026330
	v_cvt_pk_fp8_f32 v48, v50, v51 op_sel:[0,0,1]              // 000000004C78: D2A24030 00026732
	v_cvt_pk_fp8_f32 v49, v52, v53                             // 000000004C80: D2A20031 00026B34
	v_cvt_pk_fp8_f32 v49, v54, v55 op_sel:[0,0,1]              // 000000004C88: D2A24031 00026F36
	v_cvt_pk_fp8_f32 v50, v56, v57                             // 000000004C90: D2A20032 00027338
	v_cvt_pk_fp8_f32 v50, v58, v59 op_sel:[0,0,1]              // 000000004C98: D2A24032 0002773A
	v_cvt_pk_fp8_f32 v51, v60, v61                             // 000000004CA0: D2A20033 00027B3C
	v_cvt_pk_fp8_f32 v51, v62, v63 op_sel:[0,0,1]              // 000000004CA8: D2A24033 00027F3E
	v_cvt_pk_fp8_f32 v52, v64, v65                             // 000000004CB0: D2A20034 00028340
	v_cvt_pk_fp8_f32 v52, v66, v67 op_sel:[0,0,1]              // 000000004CB8: D2A24034 00028742
	v_cvt_pk_fp8_f32 v53, v68, v69                             // 000000004CC0: D2A20035 00028B44
	v_cvt_pk_fp8_f32 v53, v70, v71 op_sel:[0,0,1]              // 000000004CC8: D2A24035 00028F46
	v_cvt_pk_fp8_f32 v54, v72, v73                             // 000000004CD0: D2A20036 00029348
	v_cvt_pk_fp8_f32 v54, v74, v75 op_sel:[0,0,1]              // 000000004CD8: D2A24036 0002974A
	v_cvt_pk_fp8_f32 v55, v76, v77                             // 000000004CE0: D2A20037 00029B4C
	v_cvt_pk_fp8_f32 v55, v78, v79 op_sel:[0,0,1]              // 000000004CE8: D2A24037 00029F4E
	s_nop 0                                                    // 000000004CF0: BF800000
	v_mov_b32_e32 v21, v20                                     // 000000004CF4: 7E2A0314
	v_mul_f32_e32 v112, v20, v112                              // 000000004CF8: 0AE0E114
	v_mul_f32_e32 v113, v20, v113                              // 000000004CFC: 0AE2E314
	v_pk_mul_f32 v[114:115], v[20:21], v[114:115]              // 000000004D00: D3B14072 1802E514
	v_pk_mul_f32 v[116:117], v[20:21], v[116:117]              // 000000004D08: D3B14074 1802E914
	v_pk_mul_f32 v[118:119], v[20:21], v[118:119]              // 000000004D10: D3B14076 1802ED14
	v_pk_mul_f32 v[120:121], v[20:21], v[120:121]              // 000000004D18: D3B14078 1802F114
	v_pk_mul_f32 v[122:123], v[20:21], v[122:123]              // 000000004D20: D3B1407A 1802F514
	v_pk_mul_f32 v[124:125], v[20:21], v[124:125]              // 000000004D28: D3B1407C 1802F914
	v_pk_mul_f32 v[126:127], v[20:21], v[126:127]              // 000000004D30: D3B1407E 1802FD14
	v_pk_mul_f32 v[128:129], v[20:21], v[128:129]              // 000000004D38: D3B14080 18030114
	v_pk_mul_f32 v[130:131], v[20:21], v[130:131]              // 000000004D40: D3B14082 18030514
	v_pk_mul_f32 v[132:133], v[20:21], v[132:133]              // 000000004D48: D3B14084 18030914
	v_pk_mul_f32 v[134:135], v[20:21], v[134:135]              // 000000004D50: D3B14086 18030D14
	v_pk_mul_f32 v[136:137], v[20:21], v[136:137]              // 000000004D58: D3B14088 18031114
	v_pk_mul_f32 v[138:139], v[20:21], v[138:139]              // 000000004D60: D3B1408A 18031514
	v_pk_mul_f32 v[140:141], v[20:21], v[140:141]              // 000000004D68: D3B1408C 18031914
	v_pk_mul_f32 v[142:143], v[20:21], v[142:143]              // 000000004D70: D3B1408E 18031D14
	v_pk_mul_f32 v[144:145], v[20:21], v[144:145]              // 000000004D78: D3B14090 18032114
	v_pk_mul_f32 v[146:147], v[20:21], v[146:147]              // 000000004D80: D3B14092 18032514
	v_pk_mul_f32 v[148:149], v[20:21], v[148:149]              // 000000004D88: D3B14094 18032914
	v_pk_mul_f32 v[150:151], v[20:21], v[150:151]              // 000000004D90: D3B14096 18032D14
	v_pk_mul_f32 v[152:153], v[20:21], v[152:153]              // 000000004D98: D3B14098 18033114
	v_pk_mul_f32 v[154:155], v[20:21], v[154:155]              // 000000004DA0: D3B1409A 18033514
	v_pk_mul_f32 v[156:157], v[20:21], v[156:157]              // 000000004DA8: D3B1409C 18033914
	v_pk_mul_f32 v[158:159], v[20:21], v[158:159]              // 000000004DB0: D3B1409E 18033D14
	v_pk_mul_f32 v[160:161], v[20:21], v[160:161]              // 000000004DB8: D3B140A0 18034114
	v_pk_mul_f32 v[162:163], v[20:21], v[162:163]              // 000000004DC0: D3B140A2 18034514
	v_pk_mul_f32 v[164:165], v[20:21], v[164:165]              // 000000004DC8: D3B140A4 18034914
	v_pk_mul_f32 v[166:167], v[20:21], v[166:167]              // 000000004DD0: D3B140A6 18034D14
	v_pk_mul_f32 v[168:169], v[20:21], v[168:169]              // 000000004DD8: D3B140A8 18035114
	v_pk_mul_f32 v[170:171], v[20:21], v[170:171]              // 000000004DE0: D3B140AA 18035514
	v_pk_mul_f32 v[172:173], v[20:21], v[172:173]              // 000000004DE8: D3B140AC 18035914
	v_pk_mul_f32 v[174:175], v[20:21], v[174:175]              // 000000004DF0: D3B140AE 18035D14
	s_barrier                                                  // 000000004DF8: BF8A0000
	ds_write_b32 v14, v232 offset:17408                        // 000000004DFC: D81A4400 0000E80E
	ds_write_b32 v14, v233 offset:19488                        // 000000004E04: D81A4C20 0000E90E
	ds_write_b32 v14, v234 offset:21568                        // 000000004E0C: D81A5440 0000EA0E
	ds_write_b32 v14, v235 offset:23648                        // 000000004E14: D81A5C60 0000EB0E
	s_waitcnt lgkmcnt(0)                                       // 000000004E1C: BF8CC07F
	s_barrier                                                  // 000000004E20: BF8A0000
	s_mov_b32 m0, s55                                          // 000000004E24: BEFC0037
	ds_read_b32 v192, v13 offset:17408                         // 000000004E28: D86C4400 C000000D
	ds_read_b32 v193, v13 offset:17664                         // 000000004E30: D86C4500 C100000D
	ds_read_b32 v194, v13 offset:17920                         // 000000004E38: D86C4600 C200000D
	ds_read_b32 v195, v13 offset:18176                         // 000000004E40: D86C4700 C300000D
	buffer_load_dword v4, s[12:15], s57 offen lds              // 000000004E48: E0511000 39030004
	s_add_u32 m0, 0x880, m0                                    // 000000004E50: 807C7CFF 00000880
	ds_read_b32 v196, v13 offset:18432                         // 000000004E58: D86C4800 C400000D
	ds_read_b32 v197, v13 offset:18688                         // 000000004E60: D86C4900 C500000D
	ds_read_b32 v198, v13 offset:18944                         // 000000004E68: D86C4A00 C600000D
	ds_read_b32 v199, v13 offset:19200                         // 000000004E70: D86C4B00 C700000D
	buffer_load_dword v5, s[12:15], s57 offen lds              // 000000004E78: E0511000 39030005
	s_add_u32 m0, 0x880, m0                                    // 000000004E80: 807C7CFF 00000880
	ds_read_b32 v200, v13 offset:17440                         // 000000004E88: D86C4420 C800000D
	ds_read_b32 v201, v13 offset:17696                         // 000000004E90: D86C4520 C900000D
	ds_read_b32 v202, v13 offset:17952                         // 000000004E98: D86C4620 CA00000D
	ds_read_b32 v203, v13 offset:18208                         // 000000004EA0: D86C4720 CB00000D
	buffer_load_dword v6, s[12:15], s57 offen lds              // 000000004EA8: E0511000 39030006
	s_add_u32 m0, 0x880, m0                                    // 000000004EB0: 807C7CFF 00000880
	ds_read_b32 v204, v13 offset:18464                         // 000000004EB8: D86C4820 CC00000D
	ds_read_b32 v205, v13 offset:18720                         // 000000004EC0: D86C4920 CD00000D
	ds_read_b32 v206, v13 offset:18976                         // 000000004EC8: D86C4A20 CE00000D
	ds_read_b32 v207, v13 offset:19232                         // 000000004ED0: D86C4B20 CF00000D
	buffer_load_dword v7, s[12:15], s57 offen lds              // 000000004ED8: E0511000 39030007
	s_add_u32 m0, 0x880, m0                                    // 000000004EE0: 807C7CFF 00000880
	ds_read_b32 v208, v13 offset:17472                         // 000000004EE8: D86C4440 D000000D
	ds_read_b32 v209, v13 offset:17728                         // 000000004EF0: D86C4540 D100000D
	ds_read_b32 v210, v13 offset:17984                         // 000000004EF8: D86C4640 D200000D
	ds_read_b32 v211, v13 offset:18240                         // 000000004F00: D86C4740 D300000D
	ds_read_b32 v212, v13 offset:18496                         // 000000004F08: D86C4840 D400000D
	ds_read_b32 v213, v13 offset:18752                         // 000000004F10: D86C4940 D500000D
	ds_read_b32 v214, v13 offset:19008                         // 000000004F18: D86C4A40 D600000D
	ds_read_b32 v215, v13 offset:19264                         // 000000004F20: D86C4B40 D700000D
	ds_read_b32 v216, v13 offset:17504                         // 000000004F28: D86C4460 D800000D
	ds_read_b32 v217, v13 offset:17760                         // 000000004F30: D86C4560 D900000D
	ds_read_b32 v218, v13 offset:18016                         // 000000004F38: D86C4660 DA00000D
	ds_read_b32 v219, v13 offset:18272                         // 000000004F40: D86C4760 DB00000D
	ds_read_b32 v220, v13 offset:18528                         // 000000004F48: D86C4860 DC00000D
	ds_read_b32 v221, v13 offset:18784                         // 000000004F50: D86C4960 DD00000D
	ds_read_b32 v222, v13 offset:19040                         // 000000004F58: D86C4A60 DE00000D
	ds_read_b32 v223, v13 offset:19296                         // 000000004F60: D86C4B60 DF00000D
	s_add_i32 s57, s64, s57                                    // 000000004F68: 81393940
	s_add_u32 s34, 0x100, s63                                  // 000000004F6C: 80223FFF 00000100
	s_cmp_lt_u32 s34, s62                                      // 000000004F74: BF0A3E22
	s_cselect_b32 s64, s64, 0                                  // 000000004F78: 85408040
	s_nop 0                                                    // 000000004F7C: BF800000
	s_cmp_lt_i32 s72, s76                                      // 000000004F80: BF044C48
	s_cbranch_scc1 label_05A5                                  // 000000004F84: BF850083
	s_sub_i32 s34, s7, s72                                     // 000000004F88: 81A24807
	v_sub_i32 v16, s34, v30                                    // 000000004F8C: D29D0010 00023C22
	v_cmp_lt_i32_e64 s[50:51], 0, v16                          // 000000004F94: D0C10032 00022080
	v_cmp_lt_i32_e64 s[52:53], 1, v16                          // 000000004F9C: D0C10034 00022081
	v_cndmask_b32_e64 v80, v31, v80, s[50:51]                  // 000000004FA4: D1000050 00CAA11F
	v_cndmask_b32_e64 v81, v31, v81, s[52:53]                  // 000000004FAC: D1000051 00D2A31F
	v_cmp_lt_i32_e64 s[50:51], 2, v16                          // 000000004FB4: D0C10032 00022082
	v_cmp_lt_i32_e64 s[52:53], 3, v16                          // 000000004FBC: D0C10034 00022083
	v_cndmask_b32_e64 v82, v31, v82, s[50:51]                  // 000000004FC4: D1000052 00CAA51F
	v_cndmask_b32_e64 v83, v31, v83, s[52:53]                  // 000000004FCC: D1000053 00D2A71F
	v_cmp_lt_i32_e64 s[50:51], 8, v16                          // 000000004FD4: D0C10032 00022088
	v_cmp_lt_i32_e64 s[52:53], 9, v16                          // 000000004FDC: D0C10034 00022089
	v_cndmask_b32_e64 v84, v31, v84, s[50:51]                  // 000000004FE4: D1000054 00CAA91F
	v_cndmask_b32_e64 v85, v31, v85, s[52:53]                  // 000000004FEC: D1000055 00D2AB1F
	v_cmp_lt_i32_e64 s[50:51], 10, v16                         // 000000004FF4: D0C10032 0002208A
	v_cmp_lt_i32_e64 s[52:53], 11, v16                         // 000000004FFC: D0C10034 0002208B
	v_cndmask_b32_e64 v86, v31, v86, s[50:51]                  // 000000005004: D1000056 00CAAD1F
	v_cndmask_b32_e64 v87, v31, v87, s[52:53]                  // 00000000500C: D1000057 00D2AF1F
	v_cmp_lt_i32_e64 s[50:51], 16, v16                         // 000000005014: D0C10032 00022090
	v_cmp_lt_i32_e64 s[52:53], 17, v16                         // 00000000501C: D0C10034 00022091
	v_cndmask_b32_e64 v88, v31, v88, s[50:51]                  // 000000005024: D1000058 00CAB11F
	v_cndmask_b32_e64 v89, v31, v89, s[52:53]                  // 00000000502C: D1000059 00D2B31F
	v_cmp_lt_i32_e64 s[50:51], 18, v16                         // 000000005034: D0C10032 00022092
	v_cmp_lt_i32_e64 s[52:53], 19, v16                         // 00000000503C: D0C10034 00022093
	v_cndmask_b32_e64 v90, v31, v90, s[50:51]                  // 000000005044: D100005A 00CAB51F
	v_cndmask_b32_e64 v91, v31, v91, s[52:53]                  // 00000000504C: D100005B 00D2B71F
	v_cmp_lt_i32_e64 s[50:51], 24, v16                         // 000000005054: D0C10032 00022098
	v_cmp_lt_i32_e64 s[52:53], 25, v16                         // 00000000505C: D0C10034 00022099
	v_cndmask_b32_e64 v92, v31, v92, s[50:51]                  // 000000005064: D100005C 00CAB91F
	v_cndmask_b32_e64 v93, v31, v93, s[52:53]                  // 00000000506C: D100005D 00D2BB1F
	v_cmp_lt_i32_e64 s[50:51], 26, v16                         // 000000005074: D0C10032 0002209A
	v_cmp_lt_i32_e64 s[52:53], 27, v16                         // 00000000507C: D0C10034 0002209B
	v_cndmask_b32_e64 v94, v31, v94, s[50:51]                  // 000000005084: D100005E 00CABD1F
	v_cndmask_b32_e64 v95, v31, v95, s[52:53]                  // 00000000508C: D100005F 00D2BF1F
	v_cmp_lt_i32_e64 s[50:51], 32, v16                         // 000000005094: D0C10032 000220A0
	v_cmp_lt_i32_e64 s[52:53], 33, v16                         // 00000000509C: D0C10034 000220A1
	v_cndmask_b32_e64 v96, v31, v96, s[50:51]                  // 0000000050A4: D1000060 00CAC11F
	v_cndmask_b32_e64 v97, v31, v97, s[52:53]                  // 0000000050AC: D1000061 00D2C31F
	v_cmp_lt_i32_e64 s[50:51], 34, v16                         // 0000000050B4: D0C10032 000220A2
	v_cmp_lt_i32_e64 s[52:53], 35, v16                         // 0000000050BC: D0C10034 000220A3
	v_cndmask_b32_e64 v98, v31, v98, s[50:51]                  // 0000000050C4: D1000062 00CAC51F
	v_cndmask_b32_e64 v99, v31, v99, s[52:53]                  // 0000000050CC: D1000063 00D2C71F
	v_cmp_lt_i32_e64 s[50:51], 40, v16                         // 0000000050D4: D0C10032 000220A8
	v_cmp_lt_i32_e64 s[52:53], 41, v16                         // 0000000050DC: D0C10034 000220A9
	v_cndmask_b32_e64 v100, v31, v100, s[50:51]                // 0000000050E4: D1000064 00CAC91F
	v_cndmask_b32_e64 v101, v31, v101, s[52:53]                // 0000000050EC: D1000065 00D2CB1F
	v_cmp_lt_i32_e64 s[50:51], 42, v16                         // 0000000050F4: D0C10032 000220AA
	v_cmp_lt_i32_e64 s[52:53], 43, v16                         // 0000000050FC: D0C10034 000220AB
	v_cndmask_b32_e64 v102, v31, v102, s[50:51]                // 000000005104: D1000066 00CACD1F
	v_cndmask_b32_e64 v103, v31, v103, s[52:53]                // 00000000510C: D1000067 00D2CF1F
	v_cmp_lt_i32_e64 s[50:51], 48, v16                         // 000000005114: D0C10032 000220B0
	v_cmp_lt_i32_e64 s[52:53], 49, v16                         // 00000000511C: D0C10034 000220B1
	v_cndmask_b32_e64 v104, v31, v104, s[50:51]                // 000000005124: D1000068 00CAD11F
	v_cndmask_b32_e64 v105, v31, v105, s[52:53]                // 00000000512C: D1000069 00D2D31F
	v_cmp_lt_i32_e64 s[50:51], 50, v16                         // 000000005134: D0C10032 000220B2
	v_cmp_lt_i32_e64 s[52:53], 51, v16                         // 00000000513C: D0C10034 000220B3
	v_cndmask_b32_e64 v106, v31, v106, s[50:51]                // 000000005144: D100006A 00CAD51F
	v_cndmask_b32_e64 v107, v31, v107, s[52:53]                // 00000000514C: D100006B 00D2D71F
	v_cmp_lt_i32_e64 s[50:51], 56, v16                         // 000000005154: D0C10032 000220B8
	v_cmp_lt_i32_e64 s[52:53], 57, v16                         // 00000000515C: D0C10034 000220B9
	v_cndmask_b32_e64 v108, v31, v108, s[50:51]                // 000000005164: D100006C 00CAD91F
	v_cndmask_b32_e64 v109, v31, v109, s[52:53]                // 00000000516C: D100006D 00D2DB1F
	v_cmp_lt_i32_e64 s[50:51], 58, v16                         // 000000005174: D0C10032 000220BA
	v_cmp_lt_i32_e64 s[52:53], 59, v16                         // 00000000517C: D0C10034 000220BB
	v_cndmask_b32_e64 v110, v31, v110, s[50:51]                // 000000005184: D100006E 00CADD1F
	v_cndmask_b32_e64 v111, v31, v111, s[52:53]                // 00000000518C: D100006F 00D2DF1F

0000000000005194 <label_05A5>:
	s_waitcnt lgkmcnt(0)                                       // 000000005194: BF8CC07F
	s_barrier                                                  // 000000005198: BF8A0000
	v_mfma_f32_32x32x16_fp8_fp8 v[112:127], v[192:193], v[48:49], v[112:127]// 00000000519C: D3F70070 05C261C0
	v_max3_f32 v25, v80, v81, v28                              // 0000000051A4: D1D30019 0472A350
	v_max3_f32 v25, v82, v83, v25                              // 0000000051AC: D1D30019 0466A752
	v_max3_f32 v25, v84, v85, v25                              // 0000000051B4: D1D30019 0466AB54
	v_max3_f32 v25, v86, v87, v25                              // 0000000051BC: D1D30019 0466AF56
	v_max3_f32 v25, v88, v89, v25                              // 0000000051C4: D1D30019 0466B358
	v_max3_f32 v25, v90, v91, v25                              // 0000000051CC: D1D30019 0466B75A
	v_max3_f32 v25, v92, v93, v25                              // 0000000051D4: D1D30019 0466BB5C
	v_mfma_f32_32x32x16_fp8_fp8 v[112:127], v[194:195], v[50:51], v[112:127]// 0000000051DC: D3F70070 05C265C2
	v_max3_f32 v25, v94, v95, v25                              // 0000000051E4: D1D30019 0466BF5E
	v_max3_f32 v25, v96, v97, v25                              // 0000000051EC: D1D30019 0466C360
	v_max3_f32 v25, v98, v99, v25                              // 0000000051F4: D1D30019 0466C762
	v_max3_f32 v25, v100, v101, v25                            // 0000000051FC: D1D30019 0466CB64
	v_max3_f32 v25, v102, v103, v25                            // 000000005204: D1D30019 0466CF66
	v_max3_f32 v25, v104, v105, v25                            // 00000000520C: D1D30019 0466D368
	v_max3_f32 v25, v106, v107, v25                            // 000000005214: D1D30019 0466D76A
	v_mfma_f32_32x32x16_fp8_fp8 v[112:127], v[196:197], v[52:53], v[112:127]// 00000000521C: D3F70070 05C269C4
	v_max3_f32 v25, v108, v109, v25                            // 000000005224: D1D30019 0466DB6C
	v_max3_f32 v25, v110, v111, v25                            // 00000000522C: D1D30019 0466DF6E
	ds_permute_b32 v24, v32, v25                               // 000000005234: D87C0000 18001920
	v_mfma_f32_32x32x16_fp8_fp8 v[112:127], v[198:199], v[54:55], v[112:127]// 00000000523C: D3F70070 05C26DC6
	v_nop                                                      // 000000005244: 7E000000
	s_nop 0                                                    // 000000005248: BF800000
	v_mfma_f32_32x32x16_fp8_fp8 v[128:143], v[200:201], v[48:49], v[128:143]// 00000000524C: D3F70080 060261C8
	v_nop                                                      // 000000005254: 7E000000
	v_mfma_f32_32x32x16_fp8_fp8 v[128:143], v[202:203], v[50:51], v[128:143]// 000000005258: D3F70080 060265CA
	s_waitcnt lgkmcnt(0)                                       // 000000005260: BF8CC07F
	v_max_f32_e32 v25, v24, v25                                // 000000005264: 16323318
	v_sub_f32_e32 v20, v28, v25                                // 000000005268: 0428331C
	v_mov_b32_e32 v28, v25                                     // 00000000526C: 7E380319
	v_mul_f32_e32 v27, s74, v25                                // 000000005270: 0A36324A
	v_mul_f32_e32 v20, s74, v20                                // 000000005274: 0A28284A
	v_mfma_f32_32x32x16_fp8_fp8 v[128:143], v[204:205], v[52:53], v[128:143]// 000000005278: D3F70080 060269CC
	v_exp_f32_e32 v20, v20                                     // 000000005280: 7E284114
	v_fma_f32 v80, v80, s74, -v27                              // 000000005284: D1CB0050 846C9550
	v_fma_f32 v81, v81, s74, -v27                              // 00000000528C: D1CB0051 846C9551
	v_fma_f32 v82, v82, s74, -v27                              // 000000005294: D1CB0052 846C9552
	v_mfma_f32_32x32x16_fp8_fp8 v[128:143], v[206:207], v[54:55], v[128:143]// 00000000529C: D3F70080 06026DCE
	v_fma_f32 v83, v83, s74, -v27                              // 0000000052A4: D1CB0053 846C9553
	v_fma_f32 v84, v84, s74, -v27                              // 0000000052AC: D1CB0054 846C9554
	v_fma_f32 v85, v85, s74, -v27                              // 0000000052B4: D1CB0055 846C9555
	v_fma_f32 v86, v86, s74, -v27                              // 0000000052BC: D1CB0056 846C9556
	v_fma_f32 v87, v87, s74, -v27                              // 0000000052C4: D1CB0057 846C9557
	v_fma_f32 v88, v88, s74, -v27                              // 0000000052CC: D1CB0058 846C9558
	v_fma_f32 v89, v89, s74, -v27                              // 0000000052D4: D1CB0059 846C9559
	v_mfma_f32_32x32x16_fp8_fp8 v[144:159], v[208:209], v[48:49], v[144:159]// 0000000052DC: D3F70090 064261D0
	v_fma_f32 v90, v90, s74, -v27                              // 0000000052E4: D1CB005A 846C955A
	v_fma_f32 v91, v91, s74, -v27                              // 0000000052EC: D1CB005B 846C955B
	v_fma_f32 v92, v92, s74, -v27                              // 0000000052F4: D1CB005C 846C955C
	v_fma_f32 v93, v93, s74, -v27                              // 0000000052FC: D1CB005D 846C955D
	v_fma_f32 v94, v94, s74, -v27                              // 000000005304: D1CB005E 846C955E
	v_fma_f32 v95, v95, s74, -v27                              // 00000000530C: D1CB005F 846C955F
	v_fma_f32 v96, v96, s74, -v27                              // 000000005314: D1CB0060 846C9560
	v_mfma_f32_32x32x16_fp8_fp8 v[144:159], v[210:211], v[50:51], v[144:159]// 00000000531C: D3F70090 064265D2
	v_fma_f32 v97, v97, s74, -v27                              // 000000005324: D1CB0061 846C9561
	v_fma_f32 v98, v98, s74, -v27                              // 00000000532C: D1CB0062 846C9562
	v_fma_f32 v99, v99, s74, -v27                              // 000000005334: D1CB0063 846C9563
	v_fma_f32 v100, v100, s74, -v27                            // 00000000533C: D1CB0064 846C9564
	v_fma_f32 v101, v101, s74, -v27                            // 000000005344: D1CB0065 846C9565
	v_fma_f32 v102, v102, s74, -v27                            // 00000000534C: D1CB0066 846C9566
	v_fma_f32 v103, v103, s74, -v27                            // 000000005354: D1CB0067 846C9567
	v_mfma_f32_32x32x16_fp8_fp8 v[144:159], v[212:213], v[52:53], v[144:159]// 00000000535C: D3F70090 064269D4
	v_fma_f32 v104, v104, s74, -v27                            // 000000005364: D1CB0068 846C9568
	v_fma_f32 v105, v105, s74, -v27                            // 00000000536C: D1CB0069 846C9569
	v_fma_f32 v106, v106, s74, -v27                            // 000000005374: D1CB006A 846C956A
	v_fma_f32 v107, v107, s74, -v27                            // 00000000537C: D1CB006B 846C956B
	v_fma_f32 v108, v108, s74, -v27                            // 000000005384: D1CB006C 846C956C
	v_fma_f32 v109, v109, s74, -v27                            // 00000000538C: D1CB006D 846C956D
	v_fma_f32 v110, v110, s74, -v27                            // 000000005394: D1CB006E 846C956E
	v_mfma_f32_32x32x16_fp8_fp8 v[144:159], v[214:215], v[54:55], v[144:159]// 00000000539C: D3F70090 06426DD6
	v_fma_f32 v111, v111, s74, -v27                            // 0000000053A4: D1CB006F 846C956F
	v_exp_f32_e32 v80, v80                                     // 0000000053AC: 7EA04150
	v_exp_f32_e32 v81, v81                                     // 0000000053B0: 7EA24151
	v_mfma_f32_32x32x16_fp8_fp8 v[160:175], v[216:217], v[48:49], v[160:175]// 0000000053B4: D3F700A0 068261D8
	v_exp_f32_e32 v82, v82                                     // 0000000053BC: 7EA44152
	v_exp_f32_e32 v83, v83                                     // 0000000053C0: 7EA64153
	v_mfma_f32_32x32x16_fp8_fp8 v[160:175], v[218:219], v[50:51], v[160:175]// 0000000053C4: D3F700A0 068265DA
	v_exp_f32_e32 v84, v84                                     // 0000000053CC: 7EA84154
	v_exp_f32_e32 v85, v85                                     // 0000000053D0: 7EAA4155
	v_mfma_f32_32x32x16_fp8_fp8 v[160:175], v[220:221], v[52:53], v[160:175]// 0000000053D4: D3F700A0 068269DC
	v_exp_f32_e32 v86, v86                                     // 0000000053DC: 7EAC4156
	v_exp_f32_e32 v87, v87                                     // 0000000053E0: 7EAE4157
	v_mfma_f32_32x32x16_fp8_fp8 v[160:175], v[222:223], v[54:55], v[160:175]// 0000000053E4: D3F700A0 06826DDE
	s_waitcnt vmcnt(8)                                         // 0000000053EC: BF8C0F78
	s_barrier                                                  // 0000000053F0: BF8A0000
	ds_read_b128 v[192:195], v12                               // 0000000053F4: D9FE0000 C000000C
	ds_read_b128 v[196:199], v12 offset:32                     // 0000000053FC: D9FE0020 C400000C
	ds_read_b128 v[200:203], v12 offset:64                     // 000000005404: D9FE0040 C800000C
	ds_read_b128 v[204:207], v12 offset:96                     // 00000000540C: D9FE0060 CC00000C
	s_nop 15                                                   // 000000005414: BF80000F
	s_nop 15                                                   // 000000005418: BF80000F
	s_nop 10                                                   // 00000000541C: BF80000A
	buffer_load_dword v224, v8, s[16:19], s32 offen            // 000000005420: E0501000 2004E008
	ds_read_b128 v[208:211], v12 offset:4352                   // 000000005428: D9FE1100 D000000C
	ds_read_b128 v[212:215], v12 offset:4384                   // 000000005430: D9FE1120 D400000C
	buffer_load_dword v225, v9, s[16:19], s32 offen            // 000000005438: E0501000 2004E109
	ds_read_b128 v[216:219], v12 offset:4416                   // 000000005440: D9FE1140 D800000C
	ds_read_b128 v[220:223], v12 offset:4448                   // 000000005448: D9FE1160 DC00000C
	buffer_load_dword v226, v10, s[16:19], s32 offen           // 000000005450: E0501000 2004E20A
	buffer_load_dword v227, v11, s[16:19], s32 offen           // 000000005458: E0501000 2004E30B
	s_add_i32 s32, s65, s32                                    // 000000005460: 81202041
	s_add_u32 s34, 0xc0, s63                                   // 000000005464: 80223FFF 000000C0
	s_nop 0                                                    // 00000000546C: BF800000
	s_cmp_lt_u32 s34, s62                                      // 000000005470: BF0A3E22
	s_cselect_b32 s65, s65, 0                                  // 000000005474: 85418041
	s_add_i32 s72, s72, s73                                    // 000000005478: 81484948
	s_addk_i32 s63, 0x40                                       // 00000000547C: B73F0040
	s_cmp_lt_i32 s63, s62                                      // 000000005480: BF043E3F
	s_cbranch_scc0 label_0DBC                                  // 000000005484: BF84075A
	s_barrier                                                  // 000000005488: BF8A0000
	s_waitcnt lgkmcnt(0)                                       // 00000000548C: BF8CC07F
	v_mfma_f32_32x32x16_fp8_fp8 v[48:63], v[192:193], v[176:177], 0// 000000005490: D3F70030 020361C0
	v_exp_f32_e32 v88, v88                                     // 000000005498: 7EB04158
	v_exp_f32_e32 v89, v89                                     // 00000000549C: 7EB24159
	v_mfma_f32_32x32x16_fp8_fp8 v[48:63], v[194:195], v[178:179], v[48:63]// 0000000054A0: D3F70030 04C365C2
	v_exp_f32_e32 v90, v90                                     // 0000000054A8: 7EB4415A
	v_exp_f32_e32 v91, v91                                     // 0000000054AC: 7EB6415B
	v_mfma_f32_32x32x16_fp8_fp8 v[48:63], v[196:197], v[180:181], v[48:63]// 0000000054B0: D3F70030 04C369C4
	v_exp_f32_e32 v92, v92                                     // 0000000054B8: 7EB8415C
	v_exp_f32_e32 v93, v93                                     // 0000000054BC: 7EBA415D
	v_mfma_f32_32x32x16_fp8_fp8 v[48:63], v[198:199], v[182:183], v[48:63]// 0000000054C0: D3F70030 04C36DC6
	v_exp_f32_e32 v94, v94                                     // 0000000054C8: 7EBC415E
	v_exp_f32_e32 v95, v95                                     // 0000000054CC: 7EBE415F
	v_mfma_f32_32x32x16_fp8_fp8 v[48:63], v[200:201], v[184:185], v[48:63]// 0000000054D0: D3F70030 04C371C8
	v_exp_f32_e32 v96, v96                                     // 0000000054D8: 7EC04160
	v_exp_f32_e32 v97, v97                                     // 0000000054DC: 7EC24161
	v_mfma_f32_32x32x16_fp8_fp8 v[48:63], v[202:203], v[186:187], v[48:63]// 0000000054E0: D3F70030 04C375CA
	v_exp_f32_e32 v98, v98                                     // 0000000054E8: 7EC44162
	v_exp_f32_e32 v99, v99                                     // 0000000054EC: 7EC64163
	v_mfma_f32_32x32x16_fp8_fp8 v[48:63], v[204:205], v[188:189], v[48:63]// 0000000054F0: D3F70030 04C379CC
	v_exp_f32_e32 v100, v100                                   // 0000000054F8: 7EC84164
	v_exp_f32_e32 v101, v101                                   // 0000000054FC: 7ECA4165
	v_mfma_f32_32x32x16_fp8_fp8 v[48:63], v[206:207], v[190:191], v[48:63]// 000000005500: D3F70030 04C37DCE
	v_exp_f32_e32 v102, v102                                   // 000000005508: 7ECC4166
	v_exp_f32_e32 v103, v103                                   // 00000000550C: 7ECE4167
	v_mfma_f32_32x32x16_fp8_fp8 v[64:79], v[208:209], v[176:177], 0// 000000005510: D3F70040 020361D0
	v_exp_f32_e32 v104, v104                                   // 000000005518: 7ED04168
	v_exp_f32_e32 v105, v105                                   // 00000000551C: 7ED24169
	v_mfma_f32_32x32x16_fp8_fp8 v[64:79], v[210:211], v[178:179], v[64:79]// 000000005520: D3F70040 050365D2
	v_exp_f32_e32 v106, v106                                   // 000000005528: 7ED4416A
	v_exp_f32_e32 v107, v107                                   // 00000000552C: 7ED6416B
	v_mfma_f32_32x32x16_fp8_fp8 v[64:79], v[212:213], v[180:181], v[64:79]// 000000005530: D3F70040 050369D4
	v_exp_f32_e32 v108, v108                                   // 000000005538: 7ED8416C
	v_exp_f32_e32 v109, v109                                   // 00000000553C: 7EDA416D
	v_mfma_f32_32x32x16_fp8_fp8 v[64:79], v[214:215], v[182:183], v[64:79]// 000000005540: D3F70040 05036DD6
	s_waitcnt vmcnt(8)                                         // 000000005548: BF8C0F78
	s_barrier                                                  // 00000000554C: BF8A0000
	v_mfma_f32_32x32x16_fp8_fp8 v[64:79], v[216:217], v[184:185], v[64:79]// 000000005550: D3F70040 050371D8
	v_exp_f32_e32 v110, v110                                   // 000000005558: 7EDC416E
	v_exp_f32_e32 v111, v111                                   // 00000000555C: 7EDE416F
	v_mfma_f32_32x32x16_fp8_fp8 v[64:79], v[218:219], v[186:187], v[64:79]// 000000005560: D3F70040 050375DA
	v_mul_f32_e32 v22, v20, v22                                // 000000005568: 0A2C2D14
	v_add_f32_e32 v38, v81, v80                                // 00000000556C: 024CA151
	v_add_f32_e32 v38, v82, v38                                // 000000005570: 024C4D52
	v_add_f32_e32 v38, v83, v38                                // 000000005574: 024C4D53
	v_mfma_f32_32x32x16_fp8_fp8 v[64:79], v[220:221], v[188:189], v[64:79]// 000000005578: D3F70040 050379DC
	v_add_f32_e32 v38, v84, v38                                // 000000005580: 024C4D54
	v_add_f32_e32 v38, v85, v38                                // 000000005584: 024C4D55
	v_add_f32_e32 v38, v86, v38                                // 000000005588: 024C4D56
	v_add_f32_e32 v38, v87, v38                                // 00000000558C: 024C4D57
	v_add_f32_e32 v38, v88, v38                                // 000000005590: 024C4D58
	v_add_f32_e32 v38, v89, v38                                // 000000005594: 024C4D59
	v_add_f32_e32 v38, v90, v38                                // 000000005598: 024C4D5A
	v_mfma_f32_32x32x16_fp8_fp8 v[64:79], v[222:223], v[190:191], v[64:79]// 00000000559C: D3F70040 05037DDE
	v_perm_b32 v16, v229, v228, s69                            // 0000000055A4: D1ED0010 0117C9E5
	v_perm_b32 v17, v229, v228, s70                            // 0000000055AC: D1ED0011 011BC9E5
	v_perm_b32 v18, v231, v230, s69                            // 0000000055B4: D1ED0012 0117CDE7
	v_perm_b32 v19, v231, v230, s70                            // 0000000055BC: D1ED0013 011BCDE7
	v_perm_b32 v232, v18, v16, s68                             // 0000000055C4: D1ED00E8 01122112
	v_perm_b32 v233, v18, v16, s67                             // 0000000055CC: D1ED00E9 010E2112
	v_perm_b32 v234, v19, v17, s68                             // 0000000055D4: D1ED00EA 01122313
	v_perm_b32 v235, v19, v17, s67                             // 0000000055DC: D1ED00EB 010E2313
	v_add_f32_e32 v38, v91, v38                                // 0000000055E4: 024C4D5B
	v_add_f32_e32 v38, v92, v38                                // 0000000055E8: 024C4D5C
	v_add_f32_e32 v38, v93, v38                                // 0000000055EC: 024C4D5D
	v_add_f32_e32 v38, v94, v38                                // 0000000055F0: 024C4D5E
	v_add_f32_e32 v38, v95, v38                                // 0000000055F4: 024C4D5F
	v_add_f32_e32 v38, v96, v38                                // 0000000055F8: 024C4D60
	v_add_f32_e32 v38, v97, v38                                // 0000000055FC: 024C4D61
	v_add_f32_e32 v38, v98, v38                                // 000000005600: 024C4D62
	v_add_f32_e32 v38, v99, v38                                // 000000005604: 024C4D63
	v_add_f32_e32 v38, v100, v38                               // 000000005608: 024C4D64
	v_add_f32_e32 v38, v101, v38                               // 00000000560C: 024C4D65
	v_add_f32_e32 v38, v102, v38                               // 000000005610: 024C4D66
	v_add_f32_e32 v38, v103, v38                               // 000000005614: 024C4D67
	v_add_f32_e32 v38, v104, v38                               // 000000005618: 024C4D68
	v_add_f32_e32 v38, v105, v38                               // 00000000561C: 024C4D69
	v_add_f32_e32 v38, v106, v38                               // 000000005620: 024C4D6A
	v_add_f32_e32 v38, v107, v38                               // 000000005624: 024C4D6B
	v_add_f32_e32 v38, v108, v38                               // 000000005628: 024C4D6C
	v_add_f32_e32 v38, v109, v38                               // 00000000562C: 024C4D6D
	v_add_f32_e32 v38, v110, v38                               // 000000005630: 024C4D6E
	v_add_f32_e32 v38, v111, v38                               // 000000005634: 024C4D6F
	v_add_f32_e32 v22, v38, v22                                // 000000005638: 022C2D26
	v_cvt_pk_fp8_f32 v80, v80, v81                             // 00000000563C: D2A20050 0002A350
	v_cvt_pk_fp8_f32 v80, v82, v83 op_sel:[0,0,1]              // 000000005644: D2A24050 0002A752
	v_cvt_pk_fp8_f32 v81, v84, v85                             // 00000000564C: D2A20051 0002AB54
	v_cvt_pk_fp8_f32 v81, v86, v87 op_sel:[0,0,1]              // 000000005654: D2A24051 0002AF56
	v_cvt_pk_fp8_f32 v82, v88, v89                             // 00000000565C: D2A20052 0002B358
	v_cvt_pk_fp8_f32 v82, v90, v91 op_sel:[0,0,1]              // 000000005664: D2A24052 0002B75A
	v_cvt_pk_fp8_f32 v83, v92, v93                             // 00000000566C: D2A20053 0002BB5C
	v_cvt_pk_fp8_f32 v83, v94, v95 op_sel:[0,0,1]              // 000000005674: D2A24053 0002BF5E
	v_cvt_pk_fp8_f32 v84, v96, v97                             // 00000000567C: D2A20054 0002C360
	v_cvt_pk_fp8_f32 v84, v98, v99 op_sel:[0,0,1]              // 000000005684: D2A24054 0002C762
	v_cvt_pk_fp8_f32 v85, v100, v101                           // 00000000568C: D2A20055 0002CB64
	v_cvt_pk_fp8_f32 v85, v102, v103 op_sel:[0,0,1]            // 000000005694: D2A24055 0002CF66
	v_cvt_pk_fp8_f32 v86, v104, v105                           // 00000000569C: D2A20056 0002D368
	v_cvt_pk_fp8_f32 v86, v106, v107 op_sel:[0,0,1]            // 0000000056A4: D2A24056 0002D76A
	v_cvt_pk_fp8_f32 v87, v108, v109                           // 0000000056AC: D2A20057 0002DB6C
	v_cvt_pk_fp8_f32 v87, v110, v111 op_sel:[0,0,1]            // 0000000056B4: D2A24057 0002DF6E
	s_nop 0                                                    // 0000000056BC: BF800000
	v_mov_b32_e32 v21, v20                                     // 0000000056C0: 7E2A0314
	v_mul_f32_e32 v112, v20, v112                              // 0000000056C4: 0AE0E114
	v_mul_f32_e32 v113, v20, v113                              // 0000000056C8: 0AE2E314
	v_pk_mul_f32 v[114:115], v[20:21], v[114:115]              // 0000000056CC: D3B14072 1802E514
	v_pk_mul_f32 v[116:117], v[20:21], v[116:117]              // 0000000056D4: D3B14074 1802E914
	v_pk_mul_f32 v[118:119], v[20:21], v[118:119]              // 0000000056DC: D3B14076 1802ED14
	v_pk_mul_f32 v[120:121], v[20:21], v[120:121]              // 0000000056E4: D3B14078 1802F114
	v_pk_mul_f32 v[122:123], v[20:21], v[122:123]              // 0000000056EC: D3B1407A 1802F514
	v_pk_mul_f32 v[124:125], v[20:21], v[124:125]              // 0000000056F4: D3B1407C 1802F914
	v_pk_mul_f32 v[126:127], v[20:21], v[126:127]              // 0000000056FC: D3B1407E 1802FD14
	v_pk_mul_f32 v[128:129], v[20:21], v[128:129]              // 000000005704: D3B14080 18030114
	v_pk_mul_f32 v[130:131], v[20:21], v[130:131]              // 00000000570C: D3B14082 18030514
	v_pk_mul_f32 v[132:133], v[20:21], v[132:133]              // 000000005714: D3B14084 18030914
	v_pk_mul_f32 v[134:135], v[20:21], v[134:135]              // 00000000571C: D3B14086 18030D14
	v_pk_mul_f32 v[136:137], v[20:21], v[136:137]              // 000000005724: D3B14088 18031114
	v_pk_mul_f32 v[138:139], v[20:21], v[138:139]              // 00000000572C: D3B1408A 18031514
	v_pk_mul_f32 v[140:141], v[20:21], v[140:141]              // 000000005734: D3B1408C 18031914
	v_pk_mul_f32 v[142:143], v[20:21], v[142:143]              // 00000000573C: D3B1408E 18031D14
	v_pk_mul_f32 v[144:145], v[20:21], v[144:145]              // 000000005744: D3B14090 18032114
	v_pk_mul_f32 v[146:147], v[20:21], v[146:147]              // 00000000574C: D3B14092 18032514
	v_pk_mul_f32 v[148:149], v[20:21], v[148:149]              // 000000005754: D3B14094 18032914
	v_pk_mul_f32 v[150:151], v[20:21], v[150:151]              // 00000000575C: D3B14096 18032D14
	v_pk_mul_f32 v[152:153], v[20:21], v[152:153]              // 000000005764: D3B14098 18033114
	v_pk_mul_f32 v[154:155], v[20:21], v[154:155]              // 00000000576C: D3B1409A 18033514
	v_pk_mul_f32 v[156:157], v[20:21], v[156:157]              // 000000005774: D3B1409C 18033914
	v_pk_mul_f32 v[158:159], v[20:21], v[158:159]              // 00000000577C: D3B1409E 18033D14
	v_pk_mul_f32 v[160:161], v[20:21], v[160:161]              // 000000005784: D3B140A0 18034114
	v_pk_mul_f32 v[162:163], v[20:21], v[162:163]              // 00000000578C: D3B140A2 18034514
	v_pk_mul_f32 v[164:165], v[20:21], v[164:165]              // 000000005794: D3B140A4 18034914
	v_pk_mul_f32 v[166:167], v[20:21], v[166:167]              // 00000000579C: D3B140A6 18034D14
	v_pk_mul_f32 v[168:169], v[20:21], v[168:169]              // 0000000057A4: D3B140A8 18035114
	v_pk_mul_f32 v[170:171], v[20:21], v[170:171]              // 0000000057AC: D3B140AA 18035514
	v_pk_mul_f32 v[172:173], v[20:21], v[172:173]              // 0000000057B4: D3B140AC 18035914
	v_pk_mul_f32 v[174:175], v[20:21], v[174:175]              // 0000000057BC: D3B140AE 18035D14
	s_barrier                                                  // 0000000057C4: BF8A0000
	ds_write_b32 v14, v232 offset:17408                        // 0000000057C8: D81A4400 0000E80E
	ds_write_b32 v14, v233 offset:19488                        // 0000000057D0: D81A4C20 0000E90E
	ds_write_b32 v14, v234 offset:21568                        // 0000000057D8: D81A5440 0000EA0E
	ds_write_b32 v14, v235 offset:23648                        // 0000000057E0: D81A5C60 0000EB0E
	s_waitcnt lgkmcnt(0)                                       // 0000000057E8: BF8CC07F
	s_barrier                                                  // 0000000057EC: BF8A0000
	s_mov_b32 m0, s54                                          // 0000000057F0: BEFC0036
	ds_read_b32 v192, v13 offset:17408                         // 0000000057F4: D86C4400 C000000D
	ds_read_b32 v193, v13 offset:17664                         // 0000000057FC: D86C4500 C100000D
	ds_read_b32 v194, v13 offset:17920                         // 000000005804: D86C4600 C200000D
	ds_read_b32 v195, v13 offset:18176                         // 00000000580C: D86C4700 C300000D
	buffer_load_dword v4, s[12:15], s57 offen lds              // 000000005814: E0511000 39030004
	s_add_u32 m0, 0x880, m0                                    // 00000000581C: 807C7CFF 00000880
	ds_read_b32 v196, v13 offset:18432                         // 000000005824: D86C4800 C400000D
	ds_read_b32 v197, v13 offset:18688                         // 00000000582C: D86C4900 C500000D
	ds_read_b32 v198, v13 offset:18944                         // 000000005834: D86C4A00 C600000D
	ds_read_b32 v199, v13 offset:19200                         // 00000000583C: D86C4B00 C700000D
	buffer_load_dword v5, s[12:15], s57 offen lds              // 000000005844: E0511000 39030005
	s_add_u32 m0, 0x880, m0                                    // 00000000584C: 807C7CFF 00000880
	ds_read_b32 v200, v13 offset:17440                         // 000000005854: D86C4420 C800000D
	ds_read_b32 v201, v13 offset:17696                         // 00000000585C: D86C4520 C900000D
	ds_read_b32 v202, v13 offset:17952                         // 000000005864: D86C4620 CA00000D
	ds_read_b32 v203, v13 offset:18208                         // 00000000586C: D86C4720 CB00000D
	buffer_load_dword v6, s[12:15], s57 offen lds              // 000000005874: E0511000 39030006
	s_add_u32 m0, 0x880, m0                                    // 00000000587C: 807C7CFF 00000880
	ds_read_b32 v204, v13 offset:18464                         // 000000005884: D86C4820 CC00000D
	ds_read_b32 v205, v13 offset:18720                         // 00000000588C: D86C4920 CD00000D
	ds_read_b32 v206, v13 offset:18976                         // 000000005894: D86C4A20 CE00000D
	ds_read_b32 v207, v13 offset:19232                         // 00000000589C: D86C4B20 CF00000D
	buffer_load_dword v7, s[12:15], s57 offen lds              // 0000000058A4: E0511000 39030007
	s_add_u32 m0, 0x880, m0                                    // 0000000058AC: 807C7CFF 00000880
	ds_read_b32 v208, v13 offset:17472                         // 0000000058B4: D86C4440 D000000D
	ds_read_b32 v209, v13 offset:17728                         // 0000000058BC: D86C4540 D100000D
	ds_read_b32 v210, v13 offset:17984                         // 0000000058C4: D86C4640 D200000D
	ds_read_b32 v211, v13 offset:18240                         // 0000000058CC: D86C4740 D300000D
	ds_read_b32 v212, v13 offset:18496                         // 0000000058D4: D86C4840 D400000D
	ds_read_b32 v213, v13 offset:18752                         // 0000000058DC: D86C4940 D500000D
	ds_read_b32 v214, v13 offset:19008                         // 0000000058E4: D86C4A40 D600000D
	ds_read_b32 v215, v13 offset:19264                         // 0000000058EC: D86C4B40 D700000D
	ds_read_b32 v216, v13 offset:17504                         // 0000000058F4: D86C4460 D800000D
	ds_read_b32 v217, v13 offset:17760                         // 0000000058FC: D86C4560 D900000D
	ds_read_b32 v218, v13 offset:18016                         // 000000005904: D86C4660 DA00000D
	ds_read_b32 v219, v13 offset:18272                         // 00000000590C: D86C4760 DB00000D
	ds_read_b32 v220, v13 offset:18528                         // 000000005914: D86C4860 DC00000D
	ds_read_b32 v221, v13 offset:18784                         // 00000000591C: D86C4960 DD00000D
	ds_read_b32 v222, v13 offset:19040                         // 000000005924: D86C4A60 DE00000D
	ds_read_b32 v223, v13 offset:19296                         // 00000000592C: D86C4B60 DF00000D
	s_add_i32 s57, s64, s57                                    // 000000005934: 81393940
	s_add_u32 s34, 0x100, s63                                  // 000000005938: 80223FFF 00000100
	s_cmp_lt_u32 s34, s62                                      // 000000005940: BF0A3E22
	s_cselect_b32 s64, s64, 0                                  // 000000005944: 85408040
	s_nop 0                                                    // 000000005948: BF800000
	s_cmp_lt_i32 s72, s76                                      // 00000000594C: BF044C48
	s_cbranch_scc1 label_0818                                  // 000000005950: BF850083
	s_sub_i32 s34, s7, s72                                     // 000000005954: 81A24807
	v_sub_i32 v16, s34, v30                                    // 000000005958: D29D0010 00023C22
	v_cmp_lt_i32_e64 s[50:51], 0, v16                          // 000000005960: D0C10032 00022080
	v_cmp_lt_i32_e64 s[52:53], 1, v16                          // 000000005968: D0C10034 00022081
	v_cndmask_b32_e64 v48, v31, v48, s[50:51]                  // 000000005970: D1000030 00CA611F
	v_cndmask_b32_e64 v49, v31, v49, s[52:53]                  // 000000005978: D1000031 00D2631F
	v_cmp_lt_i32_e64 s[50:51], 2, v16                          // 000000005980: D0C10032 00022082
	v_cmp_lt_i32_e64 s[52:53], 3, v16                          // 000000005988: D0C10034 00022083
	v_cndmask_b32_e64 v50, v31, v50, s[50:51]                  // 000000005990: D1000032 00CA651F
	v_cndmask_b32_e64 v51, v31, v51, s[52:53]                  // 000000005998: D1000033 00D2671F
	v_cmp_lt_i32_e64 s[50:51], 8, v16                          // 0000000059A0: D0C10032 00022088
	v_cmp_lt_i32_e64 s[52:53], 9, v16                          // 0000000059A8: D0C10034 00022089
	v_cndmask_b32_e64 v52, v31, v52, s[50:51]                  // 0000000059B0: D1000034 00CA691F
	v_cndmask_b32_e64 v53, v31, v53, s[52:53]                  // 0000000059B8: D1000035 00D26B1F
	v_cmp_lt_i32_e64 s[50:51], 10, v16                         // 0000000059C0: D0C10032 0002208A
	v_cmp_lt_i32_e64 s[52:53], 11, v16                         // 0000000059C8: D0C10034 0002208B
	v_cndmask_b32_e64 v54, v31, v54, s[50:51]                  // 0000000059D0: D1000036 00CA6D1F
	v_cndmask_b32_e64 v55, v31, v55, s[52:53]                  // 0000000059D8: D1000037 00D26F1F
	v_cmp_lt_i32_e64 s[50:51], 16, v16                         // 0000000059E0: D0C10032 00022090
	v_cmp_lt_i32_e64 s[52:53], 17, v16                         // 0000000059E8: D0C10034 00022091
	v_cndmask_b32_e64 v56, v31, v56, s[50:51]                  // 0000000059F0: D1000038 00CA711F
	v_cndmask_b32_e64 v57, v31, v57, s[52:53]                  // 0000000059F8: D1000039 00D2731F
	v_cmp_lt_i32_e64 s[50:51], 18, v16                         // 000000005A00: D0C10032 00022092
	v_cmp_lt_i32_e64 s[52:53], 19, v16                         // 000000005A08: D0C10034 00022093
	v_cndmask_b32_e64 v58, v31, v58, s[50:51]                  // 000000005A10: D100003A 00CA751F
	v_cndmask_b32_e64 v59, v31, v59, s[52:53]                  // 000000005A18: D100003B 00D2771F
	v_cmp_lt_i32_e64 s[50:51], 24, v16                         // 000000005A20: D0C10032 00022098
	v_cmp_lt_i32_e64 s[52:53], 25, v16                         // 000000005A28: D0C10034 00022099
	v_cndmask_b32_e64 v60, v31, v60, s[50:51]                  // 000000005A30: D100003C 00CA791F
	v_cndmask_b32_e64 v61, v31, v61, s[52:53]                  // 000000005A38: D100003D 00D27B1F
	v_cmp_lt_i32_e64 s[50:51], 26, v16                         // 000000005A40: D0C10032 0002209A
	v_cmp_lt_i32_e64 s[52:53], 27, v16                         // 000000005A48: D0C10034 0002209B
	v_cndmask_b32_e64 v62, v31, v62, s[50:51]                  // 000000005A50: D100003E 00CA7D1F
	v_cndmask_b32_e64 v63, v31, v63, s[52:53]                  // 000000005A58: D100003F 00D27F1F
	v_cmp_lt_i32_e64 s[50:51], 32, v16                         // 000000005A60: D0C10032 000220A0
	v_cmp_lt_i32_e64 s[52:53], 33, v16                         // 000000005A68: D0C10034 000220A1
	v_cndmask_b32_e64 v64, v31, v64, s[50:51]                  // 000000005A70: D1000040 00CA811F
	v_cndmask_b32_e64 v65, v31, v65, s[52:53]                  // 000000005A78: D1000041 00D2831F
	v_cmp_lt_i32_e64 s[50:51], 34, v16                         // 000000005A80: D0C10032 000220A2
	v_cmp_lt_i32_e64 s[52:53], 35, v16                         // 000000005A88: D0C10034 000220A3
	v_cndmask_b32_e64 v66, v31, v66, s[50:51]                  // 000000005A90: D1000042 00CA851F
	v_cndmask_b32_e64 v67, v31, v67, s[52:53]                  // 000000005A98: D1000043 00D2871F
	v_cmp_lt_i32_e64 s[50:51], 40, v16                         // 000000005AA0: D0C10032 000220A8
	v_cmp_lt_i32_e64 s[52:53], 41, v16                         // 000000005AA8: D0C10034 000220A9
	v_cndmask_b32_e64 v68, v31, v68, s[50:51]                  // 000000005AB0: D1000044 00CA891F
	v_cndmask_b32_e64 v69, v31, v69, s[52:53]                  // 000000005AB8: D1000045 00D28B1F
	v_cmp_lt_i32_e64 s[50:51], 42, v16                         // 000000005AC0: D0C10032 000220AA
	v_cmp_lt_i32_e64 s[52:53], 43, v16                         // 000000005AC8: D0C10034 000220AB
	v_cndmask_b32_e64 v70, v31, v70, s[50:51]                  // 000000005AD0: D1000046 00CA8D1F
	v_cndmask_b32_e64 v71, v31, v71, s[52:53]                  // 000000005AD8: D1000047 00D28F1F
	v_cmp_lt_i32_e64 s[50:51], 48, v16                         // 000000005AE0: D0C10032 000220B0
	v_cmp_lt_i32_e64 s[52:53], 49, v16                         // 000000005AE8: D0C10034 000220B1
	v_cndmask_b32_e64 v72, v31, v72, s[50:51]                  // 000000005AF0: D1000048 00CA911F
	v_cndmask_b32_e64 v73, v31, v73, s[52:53]                  // 000000005AF8: D1000049 00D2931F
	v_cmp_lt_i32_e64 s[50:51], 50, v16                         // 000000005B00: D0C10032 000220B2
	v_cmp_lt_i32_e64 s[52:53], 51, v16                         // 000000005B08: D0C10034 000220B3
	v_cndmask_b32_e64 v74, v31, v74, s[50:51]                  // 000000005B10: D100004A 00CA951F
	v_cndmask_b32_e64 v75, v31, v75, s[52:53]                  // 000000005B18: D100004B 00D2971F
	v_cmp_lt_i32_e64 s[50:51], 56, v16                         // 000000005B20: D0C10032 000220B8
	v_cmp_lt_i32_e64 s[52:53], 57, v16                         // 000000005B28: D0C10034 000220B9
	v_cndmask_b32_e64 v76, v31, v76, s[50:51]                  // 000000005B30: D100004C 00CA991F
	v_cndmask_b32_e64 v77, v31, v77, s[52:53]                  // 000000005B38: D100004D 00D29B1F
	v_cmp_lt_i32_e64 s[50:51], 58, v16                         // 000000005B40: D0C10032 000220BA
	v_cmp_lt_i32_e64 s[52:53], 59, v16                         // 000000005B48: D0C10034 000220BB
	v_cndmask_b32_e64 v78, v31, v78, s[50:51]                  // 000000005B50: D100004E 00CA9D1F
	v_cndmask_b32_e64 v79, v31, v79, s[52:53]                  // 000000005B58: D100004F 00D29F1F

0000000000005b60 <label_0818>:
	s_waitcnt lgkmcnt(0)                                       // 000000005B60: BF8CC07F
	s_barrier                                                  // 000000005B64: BF8A0000
	v_mfma_f32_32x32x16_fp8_fp8 v[112:127], v[192:193], v[80:81], v[112:127]// 000000005B68: D3F70070 05C2A1C0
	v_max3_f32 v25, v48, v49, v28                              // 000000005B70: D1D30019 04726330
	v_max3_f32 v25, v50, v51, v25                              // 000000005B78: D1D30019 04666732
	v_max3_f32 v25, v52, v53, v25                              // 000000005B80: D1D30019 04666B34
	v_max3_f32 v25, v54, v55, v25                              // 000000005B88: D1D30019 04666F36
	v_max3_f32 v25, v56, v57, v25                              // 000000005B90: D1D30019 04667338
	v_max3_f32 v25, v58, v59, v25                              // 000000005B98: D1D30019 0466773A
	v_max3_f32 v25, v60, v61, v25                              // 000000005BA0: D1D30019 04667B3C
	v_mfma_f32_32x32x16_fp8_fp8 v[112:127], v[194:195], v[82:83], v[112:127]// 000000005BA8: D3F70070 05C2A5C2
	v_max3_f32 v25, v62, v63, v25                              // 000000005BB0: D1D30019 04667F3E
	v_max3_f32 v25, v64, v65, v25                              // 000000005BB8: D1D30019 04668340
	v_max3_f32 v25, v66, v67, v25                              // 000000005BC0: D1D30019 04668742
	v_max3_f32 v25, v68, v69, v25                              // 000000005BC8: D1D30019 04668B44
	v_max3_f32 v25, v70, v71, v25                              // 000000005BD0: D1D30019 04668F46
	v_max3_f32 v25, v72, v73, v25                              // 000000005BD8: D1D30019 04669348
	v_max3_f32 v25, v74, v75, v25                              // 000000005BE0: D1D30019 0466974A
	v_mfma_f32_32x32x16_fp8_fp8 v[112:127], v[196:197], v[84:85], v[112:127]// 000000005BE8: D3F70070 05C2A9C4
	v_max3_f32 v25, v76, v77, v25                              // 000000005BF0: D1D30019 04669B4C
	v_max3_f32 v25, v78, v79, v25                              // 000000005BF8: D1D30019 04669F4E
	ds_permute_b32 v24, v32, v25                               // 000000005C00: D87C0000 18001920
	v_mfma_f32_32x32x16_fp8_fp8 v[112:127], v[198:199], v[86:87], v[112:127]// 000000005C08: D3F70070 05C2ADC6
	v_nop                                                      // 000000005C10: 7E000000
	s_nop 0                                                    // 000000005C14: BF800000
	v_mfma_f32_32x32x16_fp8_fp8 v[128:143], v[200:201], v[80:81], v[128:143]// 000000005C18: D3F70080 0602A1C8
	v_nop                                                      // 000000005C20: 7E000000
	v_mfma_f32_32x32x16_fp8_fp8 v[128:143], v[202:203], v[82:83], v[128:143]// 000000005C24: D3F70080 0602A5CA
	s_waitcnt lgkmcnt(0)                                       // 000000005C2C: BF8CC07F
	v_max_f32_e32 v25, v24, v25                                // 000000005C30: 16323318
	v_sub_f32_e32 v20, v28, v25                                // 000000005C34: 0428331C
	v_mov_b32_e32 v28, v25                                     // 000000005C38: 7E380319
	v_mul_f32_e32 v27, s74, v25                                // 000000005C3C: 0A36324A
	v_mul_f32_e32 v20, s74, v20                                // 000000005C40: 0A28284A
	v_mfma_f32_32x32x16_fp8_fp8 v[128:143], v[204:205], v[84:85], v[128:143]// 000000005C44: D3F70080 0602A9CC
	v_exp_f32_e32 v20, v20                                     // 000000005C4C: 7E284114
	v_fma_f32 v48, v48, s74, -v27                              // 000000005C50: D1CB0030 846C9530
	v_fma_f32 v49, v49, s74, -v27                              // 000000005C58: D1CB0031 846C9531
	v_fma_f32 v50, v50, s74, -v27                              // 000000005C60: D1CB0032 846C9532
	v_mfma_f32_32x32x16_fp8_fp8 v[128:143], v[206:207], v[86:87], v[128:143]// 000000005C68: D3F70080 0602ADCE
	v_fma_f32 v51, v51, s74, -v27                              // 000000005C70: D1CB0033 846C9533
	v_fma_f32 v52, v52, s74, -v27                              // 000000005C78: D1CB0034 846C9534
	v_fma_f32 v53, v53, s74, -v27                              // 000000005C80: D1CB0035 846C9535
	v_fma_f32 v54, v54, s74, -v27                              // 000000005C88: D1CB0036 846C9536
	v_fma_f32 v55, v55, s74, -v27                              // 000000005C90: D1CB0037 846C9537
	v_fma_f32 v56, v56, s74, -v27                              // 000000005C98: D1CB0038 846C9538
	v_fma_f32 v57, v57, s74, -v27                              // 000000005CA0: D1CB0039 846C9539
	v_mfma_f32_32x32x16_fp8_fp8 v[144:159], v[208:209], v[80:81], v[144:159]// 000000005CA8: D3F70090 0642A1D0
	v_fma_f32 v58, v58, s74, -v27                              // 000000005CB0: D1CB003A 846C953A
	v_fma_f32 v59, v59, s74, -v27                              // 000000005CB8: D1CB003B 846C953B
	v_fma_f32 v60, v60, s74, -v27                              // 000000005CC0: D1CB003C 846C953C
	v_fma_f32 v61, v61, s74, -v27                              // 000000005CC8: D1CB003D 846C953D
	v_fma_f32 v62, v62, s74, -v27                              // 000000005CD0: D1CB003E 846C953E
	v_fma_f32 v63, v63, s74, -v27                              // 000000005CD8: D1CB003F 846C953F
	v_fma_f32 v64, v64, s74, -v27                              // 000000005CE0: D1CB0040 846C9540
	v_mfma_f32_32x32x16_fp8_fp8 v[144:159], v[210:211], v[82:83], v[144:159]// 000000005CE8: D3F70090 0642A5D2
	v_fma_f32 v65, v65, s74, -v27                              // 000000005CF0: D1CB0041 846C9541
	v_fma_f32 v66, v66, s74, -v27                              // 000000005CF8: D1CB0042 846C9542
	v_fma_f32 v67, v67, s74, -v27                              // 000000005D00: D1CB0043 846C9543
	v_fma_f32 v68, v68, s74, -v27                              // 000000005D08: D1CB0044 846C9544
	v_fma_f32 v69, v69, s74, -v27                              // 000000005D10: D1CB0045 846C9545
	v_fma_f32 v70, v70, s74, -v27                              // 000000005D18: D1CB0046 846C9546
	v_fma_f32 v71, v71, s74, -v27                              // 000000005D20: D1CB0047 846C9547
	v_mfma_f32_32x32x16_fp8_fp8 v[144:159], v[212:213], v[84:85], v[144:159]// 000000005D28: D3F70090 0642A9D4
	v_fma_f32 v72, v72, s74, -v27                              // 000000005D30: D1CB0048 846C9548
	v_fma_f32 v73, v73, s74, -v27                              // 000000005D38: D1CB0049 846C9549
	v_fma_f32 v74, v74, s74, -v27                              // 000000005D40: D1CB004A 846C954A
	v_fma_f32 v75, v75, s74, -v27                              // 000000005D48: D1CB004B 846C954B
	v_fma_f32 v76, v76, s74, -v27                              // 000000005D50: D1CB004C 846C954C
	v_fma_f32 v77, v77, s74, -v27                              // 000000005D58: D1CB004D 846C954D
	v_fma_f32 v78, v78, s74, -v27                              // 000000005D60: D1CB004E 846C954E
	v_mfma_f32_32x32x16_fp8_fp8 v[144:159], v[214:215], v[86:87], v[144:159]// 000000005D68: D3F70090 0642ADD6
	v_fma_f32 v79, v79, s74, -v27                              // 000000005D70: D1CB004F 846C954F
	v_exp_f32_e32 v48, v48                                     // 000000005D78: 7E604130
	v_exp_f32_e32 v49, v49                                     // 000000005D7C: 7E624131
	v_mfma_f32_32x32x16_fp8_fp8 v[160:175], v[216:217], v[80:81], v[160:175]// 000000005D80: D3F700A0 0682A1D8
	v_exp_f32_e32 v50, v50                                     // 000000005D88: 7E644132
	v_exp_f32_e32 v51, v51                                     // 000000005D8C: 7E664133
	v_mfma_f32_32x32x16_fp8_fp8 v[160:175], v[218:219], v[82:83], v[160:175]// 000000005D90: D3F700A0 0682A5DA
	v_exp_f32_e32 v52, v52                                     // 000000005D98: 7E684134
	v_exp_f32_e32 v53, v53                                     // 000000005D9C: 7E6A4135
	v_mfma_f32_32x32x16_fp8_fp8 v[160:175], v[220:221], v[84:85], v[160:175]// 000000005DA0: D3F700A0 0682A9DC
	v_exp_f32_e32 v54, v54                                     // 000000005DA8: 7E6C4136
	v_exp_f32_e32 v55, v55                                     // 000000005DAC: 7E6E4137
	v_mfma_f32_32x32x16_fp8_fp8 v[160:175], v[222:223], v[86:87], v[160:175]// 000000005DB0: D3F700A0 0682ADDE
	s_waitcnt vmcnt(8)                                         // 000000005DB8: BF8C0F78
	s_barrier                                                  // 000000005DBC: BF8A0000
	ds_read_b128 v[192:195], v12 offset:8704                   // 000000005DC0: D9FE2200 C000000C
	ds_read_b128 v[196:199], v12 offset:8736                   // 000000005DC8: D9FE2220 C400000C
	ds_read_b128 v[200:203], v12 offset:8768                   // 000000005DD0: D9FE2240 C800000C
	ds_read_b128 v[204:207], v12 offset:8800                   // 000000005DD8: D9FE2260 CC00000C
	s_nop 15                                                   // 000000005DE0: BF80000F
	s_nop 15                                                   // 000000005DE4: BF80000F
	s_nop 10                                                   // 000000005DE8: BF80000A
	buffer_load_dword v228, v8, s[16:19], s32 offen            // 000000005DEC: E0501000 2004E408
	ds_read_b128 v[208:211], v12 offset:13056                  // 000000005DF4: D9FE3300 D000000C
	ds_read_b128 v[212:215], v12 offset:13088                  // 000000005DFC: D9FE3320 D400000C
	buffer_load_dword v229, v9, s[16:19], s32 offen            // 000000005E04: E0501000 2004E509
	ds_read_b128 v[216:219], v12 offset:13120                  // 000000005E0C: D9FE3340 D800000C
	ds_read_b128 v[220:223], v12 offset:13152                  // 000000005E14: D9FE3360 DC00000C
	buffer_load_dword v230, v10, s[16:19], s32 offen           // 000000005E1C: E0501000 2004E60A
	buffer_load_dword v231, v11, s[16:19], s32 offen           // 000000005E24: E0501000 2004E70B
	s_add_i32 s32, s65, s32                                    // 000000005E2C: 81202041
	s_add_u32 s34, 0xc0, s63                                   // 000000005E30: 80223FFF 000000C0
	s_nop 0                                                    // 000000005E38: BF800000
	s_cmp_lt_u32 s34, s62                                      // 000000005E3C: BF0A3E22
	s_cselect_b32 s65, s65, 0                                  // 000000005E40: 85418041
	s_add_i32 s72, s72, s73                                    // 000000005E44: 81484948
	s_addk_i32 s63, 0x40                                       // 000000005E48: B73F0040
	s_cmp_lt_i32 s63, s62                                      // 000000005E4C: BF043E3F
	s_cbranch_scc0 label_0DBC                                  // 000000005E50: BF8404E7
	s_branch label_03EF                                        // 000000005E54: BF82FB19

0000000000005e58 <label_08D6>:
	s_nop 0                                                    // 000000005E58: BF800000
	s_setprio 1                                                // 000000005E5C: BF8F0001
	s_barrier                                                  // 000000005E60: BF8A0000

0000000000005e64 <label_08D9>:
	s_barrier                                                  // 000000005E64: BF8A0000
	buffer_load_dword v228, v8, s[16:19], s32 offen            // 000000005E68: E0501000 2004E408
	ds_read_b128 v[192:195], v12 offset:8704                   // 000000005E70: D9FE2200 C000000C
	ds_read_b128 v[196:199], v12 offset:8736                   // 000000005E78: D9FE2220 C400000C
	buffer_load_dword v229, v9, s[16:19], s32 offen            // 000000005E80: E0501000 2004E509
	ds_read_b128 v[200:203], v12 offset:8768                   // 000000005E88: D9FE2240 C800000C
	ds_read_b128 v[204:207], v12 offset:8800                   // 000000005E90: D9FE2260 CC00000C
	buffer_load_dword v230, v10, s[16:19], s32 offen           // 000000005E98: E0501000 2004E60A
	ds_read_b128 v[208:211], v12 offset:13056                  // 000000005EA0: D9FE3300 D000000C
	ds_read_b128 v[212:215], v12 offset:13088                  // 000000005EA8: D9FE3320 D400000C
	buffer_load_dword v231, v11, s[16:19], s32 offen           // 000000005EB0: E0501000 2004E70B
	ds_read_b128 v[216:219], v12 offset:13120                  // 000000005EB8: D9FE3340 D800000C
	ds_read_b128 v[220:223], v12 offset:13152                  // 000000005EC0: D9FE3360 DC00000C
	s_add_i32 s32, s65, s32                                    // 000000005EC8: 81202041
	s_add_u32 s34, 0x80, s63                                   // 000000005ECC: 80223FFF 00000080
	s_nop 0                                                    // 000000005ED4: BF800000
	s_cmp_lt_u32 s34, s62                                      // 000000005ED8: BF0A3E22
	s_cselect_b32 s65, s65, 0                                  // 000000005EDC: 85418041
	s_waitcnt vmcnt(8) lgkmcnt(0)                              // 000000005EE0: BF8C0078
	s_barrier                                                  // 000000005EE4: BF8A0000
	v_perm_b32 v16, v225, v224, s69                            // 000000005EE8: D1ED0010 0117C1E1
	v_perm_b32 v17, v225, v224, s70                            // 000000005EF0: D1ED0011 011BC1E1
	v_perm_b32 v18, v227, v226, s69                            // 000000005EF8: D1ED0012 0117C5E3
	v_perm_b32 v19, v227, v226, s70                            // 000000005F00: D1ED0013 011BC5E3
	v_perm_b32 v232, v18, v16, s68                             // 000000005F08: D1ED00E8 01122112
	v_perm_b32 v233, v18, v16, s67                             // 000000005F10: D1ED00E9 010E2112
	v_perm_b32 v234, v19, v17, s68                             // 000000005F18: D1ED00EA 01122313
	v_perm_b32 v235, v19, v17, s67                             // 000000005F20: D1ED00EB 010E2313
	ds_write_b32 v14, v232 offset:17408                        // 000000005F28: D81A4400 0000E80E
	ds_write_b32 v14, v233 offset:19488                        // 000000005F30: D81A4C20 0000E90E
	ds_write_b32 v14, v234 offset:21568                        // 000000005F38: D81A5440 0000EA0E
	ds_write_b32 v14, v235 offset:23648                        // 000000005F40: D81A5C60 0000EB0E
	s_barrier                                                  // 000000005F48: BF8A0000
	v_mfma_f32_32x32x16_fp8_fp8 v[80:95], v[192:193], v[176:177], 0// 000000005F4C: D3F70050 020361C0
	v_exp_f32_e32 v56, v56                                     // 000000005F54: 7E704138
	v_exp_f32_e32 v57, v57                                     // 000000005F58: 7E724139
	v_mfma_f32_32x32x16_fp8_fp8 v[80:95], v[194:195], v[178:179], v[80:95]// 000000005F5C: D3F70050 054365C2
	v_exp_f32_e32 v58, v58                                     // 000000005F64: 7E74413A
	v_exp_f32_e32 v59, v59                                     // 000000005F68: 7E76413B
	v_mfma_f32_32x32x16_fp8_fp8 v[80:95], v[196:197], v[180:181], v[80:95]// 000000005F6C: D3F70050 054369C4
	v_exp_f32_e32 v60, v60                                     // 000000005F74: 7E78413C
	v_exp_f32_e32 v61, v61                                     // 000000005F78: 7E7A413D
	v_mfma_f32_32x32x16_fp8_fp8 v[80:95], v[198:199], v[182:183], v[80:95]// 000000005F7C: D3F70050 05436DC6
	s_waitcnt lgkmcnt(0)                                       // 000000005F84: BF8CC07F
	s_barrier                                                  // 000000005F88: BF8A0000
	v_mfma_f32_32x32x16_fp8_fp8 v[80:95], v[200:201], v[184:185], v[80:95]// 000000005F8C: D3F70050 054371C8
	v_exp_f32_e32 v62, v62                                     // 000000005F94: 7E7C413E
	v_exp_f32_e32 v63, v63                                     // 000000005F98: 7E7E413F
	v_mfma_f32_32x32x16_fp8_fp8 v[80:95], v[202:203], v[186:187], v[80:95]// 000000005F9C: D3F70050 054375CA
	v_exp_f32_e32 v64, v64                                     // 000000005FA4: 7E804140
	v_exp_f32_e32 v65, v65                                     // 000000005FA8: 7E824141
	v_mfma_f32_32x32x16_fp8_fp8 v[80:95], v[204:205], v[188:189], v[80:95]// 000000005FAC: D3F70050 054379CC
	v_exp_f32_e32 v66, v66                                     // 000000005FB4: 7E844142
	v_exp_f32_e32 v67, v67                                     // 000000005FB8: 7E864143
	v_mfma_f32_32x32x16_fp8_fp8 v[80:95], v[206:207], v[190:191], v[80:95]// 000000005FBC: D3F70050 05437DCE
	v_exp_f32_e32 v68, v68                                     // 000000005FC4: 7E884144
	v_exp_f32_e32 v69, v69                                     // 000000005FC8: 7E8A4145
	v_mfma_f32_32x32x16_fp8_fp8 v[96:111], v[208:209], v[176:177], 0// 000000005FCC: D3F70060 020361D0
	v_exp_f32_e32 v70, v70                                     // 000000005FD4: 7E8C4146
	v_exp_f32_e32 v71, v71                                     // 000000005FD8: 7E8E4147
	v_mfma_f32_32x32x16_fp8_fp8 v[96:111], v[210:211], v[178:179], v[96:111]// 000000005FDC: D3F70060 058365D2
	v_exp_f32_e32 v72, v72                                     // 000000005FE4: 7E904148
	v_exp_f32_e32 v73, v73                                     // 000000005FE8: 7E924149
	v_mfma_f32_32x32x16_fp8_fp8 v[96:111], v[212:213], v[180:181], v[96:111]// 000000005FEC: D3F70060 058369D4
	v_exp_f32_e32 v74, v74                                     // 000000005FF4: 7E94414A
	v_exp_f32_e32 v75, v75                                     // 000000005FF8: 7E96414B
	v_mfma_f32_32x32x16_fp8_fp8 v[96:111], v[214:215], v[182:183], v[96:111]// 000000005FFC: D3F70060 05836DD6
	v_exp_f32_e32 v76, v76                                     // 000000006004: 7E98414C
	v_exp_f32_e32 v77, v77                                     // 000000006008: 7E9A414D
	v_mfma_f32_32x32x16_fp8_fp8 v[96:111], v[216:217], v[184:185], v[96:111]// 00000000600C: D3F70060 058371D8
	v_exp_f32_e32 v78, v78                                     // 000000006014: 7E9C414E
	v_exp_f32_e32 v79, v79                                     // 000000006018: 7E9E414F
	v_mfma_f32_32x32x16_fp8_fp8 v[96:111], v[218:219], v[186:187], v[96:111]// 00000000601C: D3F70060 058375DA
	v_mul_f32_e32 v22, v20, v22                                // 000000006024: 0A2C2D14
	v_add_f32_e32 v38, v49, v48                                // 000000006028: 024C6131
	v_add_f32_e32 v38, v50, v38                                // 00000000602C: 024C4D32
	v_add_f32_e32 v38, v51, v38                                // 000000006030: 024C4D33
	v_add_f32_e32 v38, v52, v38                                // 000000006034: 024C4D34
	v_add_f32_e32 v38, v53, v38                                // 000000006038: 024C4D35
	v_add_f32_e32 v38, v54, v38                                // 00000000603C: 024C4D36
	v_mfma_f32_32x32x16_fp8_fp8 v[96:111], v[220:221], v[188:189], v[96:111]// 000000006040: D3F70060 058379DC
	v_add_f32_e32 v38, v55, v38                                // 000000006048: 024C4D37
	v_add_f32_e32 v38, v56, v38                                // 00000000604C: 024C4D38
	v_add_f32_e32 v38, v57, v38                                // 000000006050: 024C4D39
	v_add_f32_e32 v38, v58, v38                                // 000000006054: 024C4D3A
	v_add_f32_e32 v38, v59, v38                                // 000000006058: 024C4D3B
	v_add_f32_e32 v38, v60, v38                                // 00000000605C: 024C4D3C
	v_add_f32_e32 v38, v61, v38                                // 000000006060: 024C4D3D
	v_mfma_f32_32x32x16_fp8_fp8 v[96:111], v[222:223], v[190:191], v[96:111]// 000000006064: D3F70060 05837DDE
	v_add_f32_e32 v38, v62, v38                                // 00000000606C: 024C4D3E
	v_add_f32_e32 v38, v63, v38                                // 000000006070: 024C4D3F
	v_add_f32_e32 v38, v64, v38                                // 000000006074: 024C4D40
	v_add_f32_e32 v38, v65, v38                                // 000000006078: 024C4D41
	v_add_f32_e32 v38, v66, v38                                // 00000000607C: 024C4D42
	v_add_f32_e32 v38, v67, v38                                // 000000006080: 024C4D43
	v_add_f32_e32 v38, v68, v38                                // 000000006084: 024C4D44
	v_add_f32_e32 v38, v69, v38                                // 000000006088: 024C4D45
	v_add_f32_e32 v38, v70, v38                                // 00000000608C: 024C4D46
	v_add_f32_e32 v38, v71, v38                                // 000000006090: 024C4D47
	v_add_f32_e32 v38, v72, v38                                // 000000006094: 024C4D48
	v_add_f32_e32 v38, v73, v38                                // 000000006098: 024C4D49
	v_add_f32_e32 v38, v74, v38                                // 00000000609C: 024C4D4A
	v_add_f32_e32 v38, v75, v38                                // 0000000060A0: 024C4D4B
	v_add_f32_e32 v38, v76, v38                                // 0000000060A4: 024C4D4C
	v_add_f32_e32 v38, v77, v38                                // 0000000060A8: 024C4D4D
	v_add_f32_e32 v38, v78, v38                                // 0000000060AC: 024C4D4E
	v_add_f32_e32 v38, v79, v38                                // 0000000060B0: 024C4D4F
	v_add_f32_e32 v22, v38, v22                                // 0000000060B4: 022C2D26
	v_cvt_pk_fp8_f32 v48, v48, v49                             // 0000000060B8: D2A20030 00026330
	v_cvt_pk_fp8_f32 v48, v50, v51 op_sel:[0,0,1]              // 0000000060C0: D2A24030 00026732
	v_cvt_pk_fp8_f32 v49, v52, v53                             // 0000000060C8: D2A20031 00026B34
	v_cvt_pk_fp8_f32 v49, v54, v55 op_sel:[0,0,1]              // 0000000060D0: D2A24031 00026F36
	v_cvt_pk_fp8_f32 v50, v56, v57                             // 0000000060D8: D2A20032 00027338
	v_cvt_pk_fp8_f32 v50, v58, v59 op_sel:[0,0,1]              // 0000000060E0: D2A24032 0002773A
	v_cvt_pk_fp8_f32 v51, v60, v61                             // 0000000060E8: D2A20033 00027B3C
	v_cvt_pk_fp8_f32 v51, v62, v63 op_sel:[0,0,1]              // 0000000060F0: D2A24033 00027F3E
	v_cvt_pk_fp8_f32 v52, v64, v65                             // 0000000060F8: D2A20034 00028340
	v_cvt_pk_fp8_f32 v52, v66, v67 op_sel:[0,0,1]              // 000000006100: D2A24034 00028742
	v_cvt_pk_fp8_f32 v53, v68, v69                             // 000000006108: D2A20035 00028B44
	v_cvt_pk_fp8_f32 v53, v70, v71 op_sel:[0,0,1]              // 000000006110: D2A24035 00028F46
	v_cvt_pk_fp8_f32 v54, v72, v73                             // 000000006118: D2A20036 00029348
	v_cvt_pk_fp8_f32 v54, v74, v75 op_sel:[0,0,1]              // 000000006120: D2A24036 0002974A
	v_cvt_pk_fp8_f32 v55, v76, v77                             // 000000006128: D2A20037 00029B4C
	v_cvt_pk_fp8_f32 v55, v78, v79 op_sel:[0,0,1]              // 000000006130: D2A24037 00029F4E
	s_nop 0                                                    // 000000006138: BF800000
	v_mov_b32_e32 v21, v20                                     // 00000000613C: 7E2A0314
	v_mul_f32_e32 v112, v20, v112                              // 000000006140: 0AE0E114
	v_mul_f32_e32 v113, v20, v113                              // 000000006144: 0AE2E314
	v_pk_mul_f32 v[114:115], v[20:21], v[114:115]              // 000000006148: D3B14072 1802E514
	v_pk_mul_f32 v[116:117], v[20:21], v[116:117]              // 000000006150: D3B14074 1802E914
	v_pk_mul_f32 v[118:119], v[20:21], v[118:119]              // 000000006158: D3B14076 1802ED14
	v_pk_mul_f32 v[120:121], v[20:21], v[120:121]              // 000000006160: D3B14078 1802F114
	v_pk_mul_f32 v[122:123], v[20:21], v[122:123]              // 000000006168: D3B1407A 1802F514
	v_pk_mul_f32 v[124:125], v[20:21], v[124:125]              // 000000006170: D3B1407C 1802F914
	v_pk_mul_f32 v[126:127], v[20:21], v[126:127]              // 000000006178: D3B1407E 1802FD14
	v_pk_mul_f32 v[128:129], v[20:21], v[128:129]              // 000000006180: D3B14080 18030114
	v_pk_mul_f32 v[130:131], v[20:21], v[130:131]              // 000000006188: D3B14082 18030514
	v_pk_mul_f32 v[132:133], v[20:21], v[132:133]              // 000000006190: D3B14084 18030914
	v_pk_mul_f32 v[134:135], v[20:21], v[134:135]              // 000000006198: D3B14086 18030D14
	v_pk_mul_f32 v[136:137], v[20:21], v[136:137]              // 0000000061A0: D3B14088 18031114
	v_pk_mul_f32 v[138:139], v[20:21], v[138:139]              // 0000000061A8: D3B1408A 18031514
	v_pk_mul_f32 v[140:141], v[20:21], v[140:141]              // 0000000061B0: D3B1408C 18031914
	v_pk_mul_f32 v[142:143], v[20:21], v[142:143]              // 0000000061B8: D3B1408E 18031D14
	v_pk_mul_f32 v[144:145], v[20:21], v[144:145]              // 0000000061C0: D3B14090 18032114
	v_pk_mul_f32 v[146:147], v[20:21], v[146:147]              // 0000000061C8: D3B14092 18032514
	v_pk_mul_f32 v[148:149], v[20:21], v[148:149]              // 0000000061D0: D3B14094 18032914
	v_pk_mul_f32 v[150:151], v[20:21], v[150:151]              // 0000000061D8: D3B14096 18032D14
	v_pk_mul_f32 v[152:153], v[20:21], v[152:153]              // 0000000061E0: D3B14098 18033114
	v_pk_mul_f32 v[154:155], v[20:21], v[154:155]              // 0000000061E8: D3B1409A 18033514
	v_pk_mul_f32 v[156:157], v[20:21], v[156:157]              // 0000000061F0: D3B1409C 18033914
	v_pk_mul_f32 v[158:159], v[20:21], v[158:159]              // 0000000061F8: D3B1409E 18033D14
	v_pk_mul_f32 v[160:161], v[20:21], v[160:161]              // 000000006200: D3B140A0 18034114
	v_pk_mul_f32 v[162:163], v[20:21], v[162:163]              // 000000006208: D3B140A2 18034514
	v_pk_mul_f32 v[164:165], v[20:21], v[164:165]              // 000000006210: D3B140A4 18034914
	v_pk_mul_f32 v[166:167], v[20:21], v[166:167]              // 000000006218: D3B140A6 18034D14
	v_pk_mul_f32 v[168:169], v[20:21], v[168:169]              // 000000006220: D3B140A8 18035114
	v_pk_mul_f32 v[170:171], v[20:21], v[170:171]              // 000000006228: D3B140AA 18035514
	v_pk_mul_f32 v[172:173], v[20:21], v[172:173]              // 000000006230: D3B140AC 18035914
	v_pk_mul_f32 v[174:175], v[20:21], v[174:175]              // 000000006238: D3B140AE 18035D14
	s_barrier                                                  // 000000006240: BF8A0000
	s_nop 0                                                    // 000000006244: BF800000
	s_cmp_lt_i32 s72, s76                                      // 000000006248: BF044C48
	s_cbranch_scc1 label_0A57                                  // 00000000624C: BF850083
	s_sub_i32 s34, s7, s72                                     // 000000006250: 81A24807
	v_sub_i32 v16, s34, v30                                    // 000000006254: D29D0010 00023C22
	v_cmp_lt_i32_e64 s[50:51], 0, v16                          // 00000000625C: D0C10032 00022080
	v_cmp_lt_i32_e64 s[52:53], 1, v16                          // 000000006264: D0C10034 00022081
	v_cndmask_b32_e64 v80, v31, v80, s[50:51]                  // 00000000626C: D1000050 00CAA11F
	v_cndmask_b32_e64 v81, v31, v81, s[52:53]                  // 000000006274: D1000051 00D2A31F
	v_cmp_lt_i32_e64 s[50:51], 2, v16                          // 00000000627C: D0C10032 00022082
	v_cmp_lt_i32_e64 s[52:53], 3, v16                          // 000000006284: D0C10034 00022083
	v_cndmask_b32_e64 v82, v31, v82, s[50:51]                  // 00000000628C: D1000052 00CAA51F
	v_cndmask_b32_e64 v83, v31, v83, s[52:53]                  // 000000006294: D1000053 00D2A71F
	v_cmp_lt_i32_e64 s[50:51], 8, v16                          // 00000000629C: D0C10032 00022088
	v_cmp_lt_i32_e64 s[52:53], 9, v16                          // 0000000062A4: D0C10034 00022089
	v_cndmask_b32_e64 v84, v31, v84, s[50:51]                  // 0000000062AC: D1000054 00CAA91F
	v_cndmask_b32_e64 v85, v31, v85, s[52:53]                  // 0000000062B4: D1000055 00D2AB1F
	v_cmp_lt_i32_e64 s[50:51], 10, v16                         // 0000000062BC: D0C10032 0002208A
	v_cmp_lt_i32_e64 s[52:53], 11, v16                         // 0000000062C4: D0C10034 0002208B
	v_cndmask_b32_e64 v86, v31, v86, s[50:51]                  // 0000000062CC: D1000056 00CAAD1F
	v_cndmask_b32_e64 v87, v31, v87, s[52:53]                  // 0000000062D4: D1000057 00D2AF1F
	v_cmp_lt_i32_e64 s[50:51], 16, v16                         // 0000000062DC: D0C10032 00022090
	v_cmp_lt_i32_e64 s[52:53], 17, v16                         // 0000000062E4: D0C10034 00022091
	v_cndmask_b32_e64 v88, v31, v88, s[50:51]                  // 0000000062EC: D1000058 00CAB11F
	v_cndmask_b32_e64 v89, v31, v89, s[52:53]                  // 0000000062F4: D1000059 00D2B31F
	v_cmp_lt_i32_e64 s[50:51], 18, v16                         // 0000000062FC: D0C10032 00022092
	v_cmp_lt_i32_e64 s[52:53], 19, v16                         // 000000006304: D0C10034 00022093
	v_cndmask_b32_e64 v90, v31, v90, s[50:51]                  // 00000000630C: D100005A 00CAB51F
	v_cndmask_b32_e64 v91, v31, v91, s[52:53]                  // 000000006314: D100005B 00D2B71F
	v_cmp_lt_i32_e64 s[50:51], 24, v16                         // 00000000631C: D0C10032 00022098
	v_cmp_lt_i32_e64 s[52:53], 25, v16                         // 000000006324: D0C10034 00022099
	v_cndmask_b32_e64 v92, v31, v92, s[50:51]                  // 00000000632C: D100005C 00CAB91F
	v_cndmask_b32_e64 v93, v31, v93, s[52:53]                  // 000000006334: D100005D 00D2BB1F
	v_cmp_lt_i32_e64 s[50:51], 26, v16                         // 00000000633C: D0C10032 0002209A
	v_cmp_lt_i32_e64 s[52:53], 27, v16                         // 000000006344: D0C10034 0002209B
	v_cndmask_b32_e64 v94, v31, v94, s[50:51]                  // 00000000634C: D100005E 00CABD1F
	v_cndmask_b32_e64 v95, v31, v95, s[52:53]                  // 000000006354: D100005F 00D2BF1F
	v_cmp_lt_i32_e64 s[50:51], 32, v16                         // 00000000635C: D0C10032 000220A0
	v_cmp_lt_i32_e64 s[52:53], 33, v16                         // 000000006364: D0C10034 000220A1
	v_cndmask_b32_e64 v96, v31, v96, s[50:51]                  // 00000000636C: D1000060 00CAC11F
	v_cndmask_b32_e64 v97, v31, v97, s[52:53]                  // 000000006374: D1000061 00D2C31F
	v_cmp_lt_i32_e64 s[50:51], 34, v16                         // 00000000637C: D0C10032 000220A2
	v_cmp_lt_i32_e64 s[52:53], 35, v16                         // 000000006384: D0C10034 000220A3
	v_cndmask_b32_e64 v98, v31, v98, s[50:51]                  // 00000000638C: D1000062 00CAC51F
	v_cndmask_b32_e64 v99, v31, v99, s[52:53]                  // 000000006394: D1000063 00D2C71F
	v_cmp_lt_i32_e64 s[50:51], 40, v16                         // 00000000639C: D0C10032 000220A8
	v_cmp_lt_i32_e64 s[52:53], 41, v16                         // 0000000063A4: D0C10034 000220A9
	v_cndmask_b32_e64 v100, v31, v100, s[50:51]                // 0000000063AC: D1000064 00CAC91F
	v_cndmask_b32_e64 v101, v31, v101, s[52:53]                // 0000000063B4: D1000065 00D2CB1F
	v_cmp_lt_i32_e64 s[50:51], 42, v16                         // 0000000063BC: D0C10032 000220AA
	v_cmp_lt_i32_e64 s[52:53], 43, v16                         // 0000000063C4: D0C10034 000220AB
	v_cndmask_b32_e64 v102, v31, v102, s[50:51]                // 0000000063CC: D1000066 00CACD1F
	v_cndmask_b32_e64 v103, v31, v103, s[52:53]                // 0000000063D4: D1000067 00D2CF1F
	v_cmp_lt_i32_e64 s[50:51], 48, v16                         // 0000000063DC: D0C10032 000220B0
	v_cmp_lt_i32_e64 s[52:53], 49, v16                         // 0000000063E4: D0C10034 000220B1
	v_cndmask_b32_e64 v104, v31, v104, s[50:51]                // 0000000063EC: D1000068 00CAD11F
	v_cndmask_b32_e64 v105, v31, v105, s[52:53]                // 0000000063F4: D1000069 00D2D31F
	v_cmp_lt_i32_e64 s[50:51], 50, v16                         // 0000000063FC: D0C10032 000220B2
	v_cmp_lt_i32_e64 s[52:53], 51, v16                         // 000000006404: D0C10034 000220B3
	v_cndmask_b32_e64 v106, v31, v106, s[50:51]                // 00000000640C: D100006A 00CAD51F
	v_cndmask_b32_e64 v107, v31, v107, s[52:53]                // 000000006414: D100006B 00D2D71F
	v_cmp_lt_i32_e64 s[50:51], 56, v16                         // 00000000641C: D0C10032 000220B8
	v_cmp_lt_i32_e64 s[52:53], 57, v16                         // 000000006424: D0C10034 000220B9
	v_cndmask_b32_e64 v108, v31, v108, s[50:51]                // 00000000642C: D100006C 00CAD91F
	v_cndmask_b32_e64 v109, v31, v109, s[52:53]                // 000000006434: D100006D 00D2DB1F
	v_cmp_lt_i32_e64 s[50:51], 58, v16                         // 00000000643C: D0C10032 000220BA
	v_cmp_lt_i32_e64 s[52:53], 59, v16                         // 000000006444: D0C10034 000220BB
	v_cndmask_b32_e64 v110, v31, v110, s[50:51]                // 00000000644C: D100006E 00CADD1F
	v_cndmask_b32_e64 v111, v31, v111, s[52:53]                // 000000006454: D100006F 00D2DF1F

000000000000645c <label_0A57>:
	s_nop 0                                                    // 00000000645C: BF800000
	s_mov_b32 m0, s55                                          // 000000006460: BEFC0037
	ds_read_b32 v192, v13 offset:17408                         // 000000006464: D86C4400 C000000D
	ds_read_b32 v193, v13 offset:17664                         // 00000000646C: D86C4500 C100000D
	ds_read_b32 v194, v13 offset:17920                         // 000000006474: D86C4600 C200000D
	ds_read_b32 v195, v13 offset:18176                         // 00000000647C: D86C4700 C300000D
	ds_read_b32 v196, v13 offset:18432                         // 000000006484: D86C4800 C400000D
	ds_read_b32 v197, v13 offset:18688                         // 00000000648C: D86C4900 C500000D
	ds_read_b32 v198, v13 offset:18944                         // 000000006494: D86C4A00 C600000D
	ds_read_b32 v199, v13 offset:19200                         // 00000000649C: D86C4B00 C700000D
	s_nop 15                                                   // 0000000064A4: BF80000F
	s_nop 15                                                   // 0000000064A8: BF80000F
	buffer_load_dword v4, s[12:15], s57 offen lds              // 0000000064AC: E0511000 39030004
	s_add_u32 m0, 0x880, m0                                    // 0000000064B4: 807C7CFF 00000880
	ds_read_b32 v200, v13 offset:17440                         // 0000000064BC: D86C4420 C800000D
	ds_read_b32 v201, v13 offset:17696                         // 0000000064C4: D86C4520 C900000D
	ds_read_b32 v202, v13 offset:17952                         // 0000000064CC: D86C4620 CA00000D
	ds_read_b32 v203, v13 offset:18208                         // 0000000064D4: D86C4720 CB00000D
	buffer_load_dword v5, s[12:15], s57 offen lds              // 0000000064DC: E0511000 39030005
	s_add_u32 m0, 0x880, m0                                    // 0000000064E4: 807C7CFF 00000880
	ds_read_b32 v204, v13 offset:18464                         // 0000000064EC: D86C4820 CC00000D
	ds_read_b32 v205, v13 offset:18720                         // 0000000064F4: D86C4920 CD00000D
	ds_read_b32 v206, v13 offset:18976                         // 0000000064FC: D86C4A20 CE00000D
	ds_read_b32 v207, v13 offset:19232                         // 000000006504: D86C4B20 CF00000D
	buffer_load_dword v6, s[12:15], s57 offen lds              // 00000000650C: E0511000 39030006
	s_add_u32 m0, 0x880, m0                                    // 000000006514: 807C7CFF 00000880
	ds_read_b32 v208, v13 offset:17472                         // 00000000651C: D86C4440 D000000D
	ds_read_b32 v209, v13 offset:17728                         // 000000006524: D86C4540 D100000D
	ds_read_b32 v210, v13 offset:17984                         // 00000000652C: D86C4640 D200000D
	ds_read_b32 v211, v13 offset:18240                         // 000000006534: D86C4740 D300000D
	buffer_load_dword v7, s[12:15], s57 offen lds              // 00000000653C: E0511000 39030007
	s_add_u32 m0, 0x880, m0                                    // 000000006544: 807C7CFF 00000880
	ds_read_b32 v212, v13 offset:18496                         // 00000000654C: D86C4840 D400000D
	ds_read_b32 v213, v13 offset:18752                         // 000000006554: D86C4940 D500000D
	ds_read_b32 v214, v13 offset:19008                         // 00000000655C: D86C4A40 D600000D
	ds_read_b32 v215, v13 offset:19264                         // 000000006564: D86C4B40 D700000D
	ds_read_b32 v216, v13 offset:17504                         // 00000000656C: D86C4460 D800000D
	ds_read_b32 v217, v13 offset:17760                         // 000000006574: D86C4560 D900000D
	ds_read_b32 v218, v13 offset:18016                         // 00000000657C: D86C4660 DA00000D
	ds_read_b32 v219, v13 offset:18272                         // 000000006584: D86C4760 DB00000D
	ds_read_b32 v220, v13 offset:18528                         // 00000000658C: D86C4860 DC00000D
	ds_read_b32 v221, v13 offset:18784                         // 000000006594: D86C4960 DD00000D
	ds_read_b32 v222, v13 offset:19040                         // 00000000659C: D86C4A60 DE00000D
	ds_read_b32 v223, v13 offset:19296                         // 0000000065A4: D86C4B60 DF00000D
	s_add_i32 s57, s64, s57                                    // 0000000065AC: 81393940
	s_add_u32 s34, 0x100, s63                                  // 0000000065B0: 80223FFF 00000100
	s_cmp_lt_u32 s34, s62                                      // 0000000065B8: BF0A3E22
	s_cselect_b32 s64, s64, 0                                  // 0000000065BC: 85408040
	s_add_i32 s72, s72, s73                                    // 0000000065C0: 81484948
	s_addk_i32 s63, 0x40                                       // 0000000065C4: B73F0040
	s_cmp_lt_i32 s63, s62                                      // 0000000065C8: BF043E3F
	s_waitcnt vmcnt(8) lgkmcnt(0)                              // 0000000065CC: BF8C0078
	s_barrier                                                  // 0000000065D0: BF8A0000
	v_mfma_f32_32x32x16_fp8_fp8 v[112:127], v[192:193], v[48:49], v[112:127]// 0000000065D4: D3F70070 05C261C0
	v_max3_f32 v25, v80, v81, v28                              // 0000000065DC: D1D30019 0472A350
	v_max3_f32 v25, v82, v83, v25                              // 0000000065E4: D1D30019 0466A752
	v_max3_f32 v25, v84, v85, v25                              // 0000000065EC: D1D30019 0466AB54
	v_max3_f32 v25, v86, v87, v25                              // 0000000065F4: D1D30019 0466AF56
	v_max3_f32 v25, v88, v89, v25                              // 0000000065FC: D1D30019 0466B358
	v_max3_f32 v25, v90, v91, v25                              // 000000006604: D1D30019 0466B75A
	v_max3_f32 v25, v92, v93, v25                              // 00000000660C: D1D30019 0466BB5C
	v_mfma_f32_32x32x16_fp8_fp8 v[112:127], v[194:195], v[50:51], v[112:127]// 000000006614: D3F70070 05C265C2
	v_max3_f32 v25, v94, v95, v25                              // 00000000661C: D1D30019 0466BF5E
	v_max3_f32 v25, v96, v97, v25                              // 000000006624: D1D30019 0466C360
	v_max3_f32 v25, v98, v99, v25                              // 00000000662C: D1D30019 0466C762
	v_max3_f32 v25, v100, v101, v25                            // 000000006634: D1D30019 0466CB64
	v_max3_f32 v25, v102, v103, v25                            // 00000000663C: D1D30019 0466CF66
	v_max3_f32 v25, v104, v105, v25                            // 000000006644: D1D30019 0466D368
	v_max3_f32 v25, v106, v107, v25                            // 00000000664C: D1D30019 0466D76A
	v_mfma_f32_32x32x16_fp8_fp8 v[112:127], v[196:197], v[52:53], v[112:127]// 000000006654: D3F70070 05C269C4
	v_max3_f32 v25, v108, v109, v25                            // 00000000665C: D1D30019 0466DB6C
	v_max3_f32 v25, v110, v111, v25                            // 000000006664: D1D30019 0466DF6E
	ds_permute_b32 v24, v32, v25                               // 00000000666C: D87C0000 18001920
	v_mfma_f32_32x32x16_fp8_fp8 v[112:127], v[198:199], v[54:55], v[112:127]// 000000006674: D3F70070 05C26DC6
	v_nop                                                      // 00000000667C: 7E000000
	s_nop 0                                                    // 000000006680: BF800000
	v_mfma_f32_32x32x16_fp8_fp8 v[128:143], v[200:201], v[48:49], v[128:143]// 000000006684: D3F70080 060261C8
	v_nop                                                      // 00000000668C: 7E000000
	v_mfma_f32_32x32x16_fp8_fp8 v[128:143], v[202:203], v[50:51], v[128:143]// 000000006690: D3F70080 060265CA
	s_waitcnt lgkmcnt(0)                                       // 000000006698: BF8CC07F
	v_max_f32_e32 v25, v24, v25                                // 00000000669C: 16323318
	v_sub_f32_e32 v20, v28, v25                                // 0000000066A0: 0428331C
	v_mov_b32_e32 v28, v25                                     // 0000000066A4: 7E380319
	v_mul_f32_e32 v27, s74, v25                                // 0000000066A8: 0A36324A
	v_mul_f32_e32 v20, s74, v20                                // 0000000066AC: 0A28284A
	v_mfma_f32_32x32x16_fp8_fp8 v[128:143], v[204:205], v[52:53], v[128:143]// 0000000066B0: D3F70080 060269CC
	v_exp_f32_e32 v20, v20                                     // 0000000066B8: 7E284114
	v_fma_f32 v80, v80, s74, -v27                              // 0000000066BC: D1CB0050 846C9550
	v_fma_f32 v81, v81, s74, -v27                              // 0000000066C4: D1CB0051 846C9551
	v_fma_f32 v82, v82, s74, -v27                              // 0000000066CC: D1CB0052 846C9552
	v_mfma_f32_32x32x16_fp8_fp8 v[128:143], v[206:207], v[54:55], v[128:143]// 0000000066D4: D3F70080 06026DCE
	v_fma_f32 v83, v83, s74, -v27                              // 0000000066DC: D1CB0053 846C9553
	v_fma_f32 v84, v84, s74, -v27                              // 0000000066E4: D1CB0054 846C9554
	v_fma_f32 v85, v85, s74, -v27                              // 0000000066EC: D1CB0055 846C9555
	v_fma_f32 v86, v86, s74, -v27                              // 0000000066F4: D1CB0056 846C9556
	v_fma_f32 v87, v87, s74, -v27                              // 0000000066FC: D1CB0057 846C9557
	v_fma_f32 v88, v88, s74, -v27                              // 000000006704: D1CB0058 846C9558
	v_fma_f32 v89, v89, s74, -v27                              // 00000000670C: D1CB0059 846C9559
	v_mfma_f32_32x32x16_fp8_fp8 v[144:159], v[208:209], v[48:49], v[144:159]// 000000006714: D3F70090 064261D0
	v_fma_f32 v90, v90, s74, -v27                              // 00000000671C: D1CB005A 846C955A
	v_fma_f32 v91, v91, s74, -v27                              // 000000006724: D1CB005B 846C955B
	v_fma_f32 v92, v92, s74, -v27                              // 00000000672C: D1CB005C 846C955C
	v_fma_f32 v93, v93, s74, -v27                              // 000000006734: D1CB005D 846C955D
	v_fma_f32 v94, v94, s74, -v27                              // 00000000673C: D1CB005E 846C955E
	v_fma_f32 v95, v95, s74, -v27                              // 000000006744: D1CB005F 846C955F
	v_fma_f32 v96, v96, s74, -v27                              // 00000000674C: D1CB0060 846C9560
	v_mfma_f32_32x32x16_fp8_fp8 v[144:159], v[210:211], v[50:51], v[144:159]// 000000006754: D3F70090 064265D2
	v_fma_f32 v97, v97, s74, -v27                              // 00000000675C: D1CB0061 846C9561
	v_fma_f32 v98, v98, s74, -v27                              // 000000006764: D1CB0062 846C9562
	v_fma_f32 v99, v99, s74, -v27                              // 00000000676C: D1CB0063 846C9563
	v_fma_f32 v100, v100, s74, -v27                            // 000000006774: D1CB0064 846C9564
	v_fma_f32 v101, v101, s74, -v27                            // 00000000677C: D1CB0065 846C9565
	v_fma_f32 v102, v102, s74, -v27                            // 000000006784: D1CB0066 846C9566
	v_fma_f32 v103, v103, s74, -v27                            // 00000000678C: D1CB0067 846C9567
	v_mfma_f32_32x32x16_fp8_fp8 v[144:159], v[212:213], v[52:53], v[144:159]// 000000006794: D3F70090 064269D4
	v_fma_f32 v104, v104, s74, -v27                            // 00000000679C: D1CB0068 846C9568
	v_fma_f32 v105, v105, s74, -v27                            // 0000000067A4: D1CB0069 846C9569
	v_fma_f32 v106, v106, s74, -v27                            // 0000000067AC: D1CB006A 846C956A
	v_fma_f32 v107, v107, s74, -v27                            // 0000000067B4: D1CB006B 846C956B
	v_fma_f32 v108, v108, s74, -v27                            // 0000000067BC: D1CB006C 846C956C
	v_fma_f32 v109, v109, s74, -v27                            // 0000000067C4: D1CB006D 846C956D
	v_fma_f32 v110, v110, s74, -v27                            // 0000000067CC: D1CB006E 846C956E
	v_mfma_f32_32x32x16_fp8_fp8 v[144:159], v[214:215], v[54:55], v[144:159]// 0000000067D4: D3F70090 06426DD6
	v_fma_f32 v111, v111, s74, -v27                            // 0000000067DC: D1CB006F 846C956F
	v_exp_f32_e32 v80, v80                                     // 0000000067E4: 7EA04150
	v_exp_f32_e32 v81, v81                                     // 0000000067E8: 7EA24151
	v_mfma_f32_32x32x16_fp8_fp8 v[160:175], v[216:217], v[48:49], v[160:175]// 0000000067EC: D3F700A0 068261D8
	v_exp_f32_e32 v82, v82                                     // 0000000067F4: 7EA44152
	v_exp_f32_e32 v83, v83                                     // 0000000067F8: 7EA64153
	v_mfma_f32_32x32x16_fp8_fp8 v[160:175], v[218:219], v[50:51], v[160:175]// 0000000067FC: D3F700A0 068265DA
	v_exp_f32_e32 v84, v84                                     // 000000006804: 7EA84154
	v_exp_f32_e32 v85, v85                                     // 000000006808: 7EAA4155
	v_mfma_f32_32x32x16_fp8_fp8 v[160:175], v[220:221], v[52:53], v[160:175]// 00000000680C: D3F700A0 068269DC
	v_exp_f32_e32 v86, v86                                     // 000000006814: 7EAC4156
	v_exp_f32_e32 v87, v87                                     // 000000006818: 7EAE4157
	v_mfma_f32_32x32x16_fp8_fp8 v[160:175], v[222:223], v[54:55], v[160:175]// 00000000681C: D3F700A0 06826DDE
	s_cbranch_scc0 label_0DBC                                  // 000000006824: BF840272
	s_barrier                                                  // 000000006828: BF8A0000
	buffer_load_dword v224, v8, s[16:19], s32 offen            // 00000000682C: E0501000 2004E008
	ds_read_b128 v[192:195], v12                               // 000000006834: D9FE0000 C000000C
	ds_read_b128 v[196:199], v12 offset:32                     // 00000000683C: D9FE0020 C400000C
	buffer_load_dword v225, v9, s[16:19], s32 offen            // 000000006844: E0501000 2004E109
	ds_read_b128 v[200:203], v12 offset:64                     // 00000000684C: D9FE0040 C800000C
	ds_read_b128 v[204:207], v12 offset:96                     // 000000006854: D9FE0060 CC00000C
	buffer_load_dword v226, v10, s[16:19], s32 offen           // 00000000685C: E0501000 2004E20A
	ds_read_b128 v[208:211], v12 offset:4352                   // 000000006864: D9FE1100 D000000C
	ds_read_b128 v[212:215], v12 offset:4384                   // 00000000686C: D9FE1120 D400000C
	buffer_load_dword v227, v11, s[16:19], s32 offen           // 000000006874: E0501000 2004E30B
	ds_read_b128 v[216:219], v12 offset:4416                   // 00000000687C: D9FE1140 D800000C
	ds_read_b128 v[220:223], v12 offset:4448                   // 000000006884: D9FE1160 DC00000C
	s_add_i32 s32, s65, s32                                    // 00000000688C: 81202041
	s_add_u32 s34, 0x80, s63                                   // 000000006890: 80223FFF 00000080
	s_nop 0                                                    // 000000006898: BF800000
	s_cmp_lt_u32 s34, s62                                      // 00000000689C: BF0A3E22
	s_cselect_b32 s65, s65, 0                                  // 0000000068A0: 85418041
	s_waitcnt vmcnt(8) lgkmcnt(0)                              // 0000000068A4: BF8C0078
	s_barrier                                                  // 0000000068A8: BF8A0000
	v_perm_b32 v16, v229, v228, s69                            // 0000000068AC: D1ED0010 0117C9E5
	v_perm_b32 v17, v229, v228, s70                            // 0000000068B4: D1ED0011 011BC9E5
	v_perm_b32 v18, v231, v230, s69                            // 0000000068BC: D1ED0012 0117CDE7
	v_perm_b32 v19, v231, v230, s70                            // 0000000068C4: D1ED0013 011BCDE7
	v_perm_b32 v232, v18, v16, s68                             // 0000000068CC: D1ED00E8 01122112
	v_perm_b32 v233, v18, v16, s67                             // 0000000068D4: D1ED00E9 010E2112
	v_perm_b32 v234, v19, v17, s68                             // 0000000068DC: D1ED00EA 01122313
	v_perm_b32 v235, v19, v17, s67                             // 0000000068E4: D1ED00EB 010E2313
	ds_write_b32 v14, v232 offset:17408                        // 0000000068EC: D81A4400 0000E80E
	ds_write_b32 v14, v233 offset:19488                        // 0000000068F4: D81A4C20 0000E90E
	ds_write_b32 v14, v234 offset:21568                        // 0000000068FC: D81A5440 0000EA0E
	ds_write_b32 v14, v235 offset:23648                        // 000000006904: D81A5C60 0000EB0E
	s_barrier                                                  // 00000000690C: BF8A0000
	v_mfma_f32_32x32x16_fp8_fp8 v[48:63], v[192:193], v[176:177], 0// 000000006910: D3F70030 020361C0
	v_exp_f32_e32 v88, v88                                     // 000000006918: 7EB04158
	v_exp_f32_e32 v89, v89                                     // 00000000691C: 7EB24159
	v_mfma_f32_32x32x16_fp8_fp8 v[48:63], v[194:195], v[178:179], v[48:63]// 000000006920: D3F70030 04C365C2
	v_exp_f32_e32 v90, v90                                     // 000000006928: 7EB4415A
	v_exp_f32_e32 v91, v91                                     // 00000000692C: 7EB6415B
	v_mfma_f32_32x32x16_fp8_fp8 v[48:63], v[196:197], v[180:181], v[48:63]// 000000006930: D3F70030 04C369C4
	v_exp_f32_e32 v92, v92                                     // 000000006938: 7EB8415C
	v_exp_f32_e32 v93, v93                                     // 00000000693C: 7EBA415D
	v_mfma_f32_32x32x16_fp8_fp8 v[48:63], v[198:199], v[182:183], v[48:63]// 000000006940: D3F70030 04C36DC6
	s_waitcnt lgkmcnt(0)                                       // 000000006948: BF8CC07F
	s_barrier                                                  // 00000000694C: BF8A0000
	v_mfma_f32_32x32x16_fp8_fp8 v[48:63], v[200:201], v[184:185], v[48:63]// 000000006950: D3F70030 04C371C8
	v_exp_f32_e32 v94, v94                                     // 000000006958: 7EBC415E
	v_exp_f32_e32 v95, v95                                     // 00000000695C: 7EBE415F
	v_mfma_f32_32x32x16_fp8_fp8 v[48:63], v[202:203], v[186:187], v[48:63]// 000000006960: D3F70030 04C375CA
	v_exp_f32_e32 v96, v96                                     // 000000006968: 7EC04160
	v_exp_f32_e32 v97, v97                                     // 00000000696C: 7EC24161
	v_mfma_f32_32x32x16_fp8_fp8 v[48:63], v[204:205], v[188:189], v[48:63]// 000000006970: D3F70030 04C379CC
	v_exp_f32_e32 v98, v98                                     // 000000006978: 7EC44162
	v_exp_f32_e32 v99, v99                                     // 00000000697C: 7EC64163
	v_mfma_f32_32x32x16_fp8_fp8 v[48:63], v[206:207], v[190:191], v[48:63]// 000000006980: D3F70030 04C37DCE
	v_exp_f32_e32 v100, v100                                   // 000000006988: 7EC84164
	v_exp_f32_e32 v101, v101                                   // 00000000698C: 7ECA4165
	v_mfma_f32_32x32x16_fp8_fp8 v[64:79], v[208:209], v[176:177], 0// 000000006990: D3F70040 020361D0
	v_exp_f32_e32 v102, v102                                   // 000000006998: 7ECC4166
	v_exp_f32_e32 v103, v103                                   // 00000000699C: 7ECE4167
	v_mfma_f32_32x32x16_fp8_fp8 v[64:79], v[210:211], v[178:179], v[64:79]// 0000000069A0: D3F70040 050365D2
	v_exp_f32_e32 v104, v104                                   // 0000000069A8: 7ED04168
	v_exp_f32_e32 v105, v105                                   // 0000000069AC: 7ED24169
	v_mfma_f32_32x32x16_fp8_fp8 v[64:79], v[212:213], v[180:181], v[64:79]// 0000000069B0: D3F70040 050369D4
	v_exp_f32_e32 v106, v106                                   // 0000000069B8: 7ED4416A
	v_exp_f32_e32 v107, v107                                   // 0000000069BC: 7ED6416B
	v_mfma_f32_32x32x16_fp8_fp8 v[64:79], v[214:215], v[182:183], v[64:79]// 0000000069C0: D3F70040 05036DD6
	v_exp_f32_e32 v108, v108                                   // 0000000069C8: 7ED8416C
	v_exp_f32_e32 v109, v109                                   // 0000000069CC: 7EDA416D
	v_mfma_f32_32x32x16_fp8_fp8 v[64:79], v[216:217], v[184:185], v[64:79]// 0000000069D0: D3F70040 050371D8
	v_exp_f32_e32 v110, v110                                   // 0000000069D8: 7EDC416E
	v_exp_f32_e32 v111, v111                                   // 0000000069DC: 7EDE416F
	v_mfma_f32_32x32x16_fp8_fp8 v[64:79], v[218:219], v[186:187], v[64:79]// 0000000069E0: D3F70040 050375DA
	v_mul_f32_e32 v22, v20, v22                                // 0000000069E8: 0A2C2D14
	v_add_f32_e32 v38, v81, v80                                // 0000000069EC: 024CA151
	v_add_f32_e32 v38, v82, v38                                // 0000000069F0: 024C4D52
	v_add_f32_e32 v38, v83, v38                                // 0000000069F4: 024C4D53
	v_add_f32_e32 v38, v84, v38                                // 0000000069F8: 024C4D54
	v_add_f32_e32 v38, v85, v38                                // 0000000069FC: 024C4D55
	v_add_f32_e32 v38, v86, v38                                // 000000006A00: 024C4D56
	v_mfma_f32_32x32x16_fp8_fp8 v[64:79], v[220:221], v[188:189], v[64:79]// 000000006A04: D3F70040 050379DC
	v_add_f32_e32 v38, v87, v38                                // 000000006A0C: 024C4D57
	v_add_f32_e32 v38, v88, v38                                // 000000006A10: 024C4D58
	v_add_f32_e32 v38, v89, v38                                // 000000006A14: 024C4D59
	v_add_f32_e32 v38, v90, v38                                // 000000006A18: 024C4D5A
	v_add_f32_e32 v38, v91, v38                                // 000000006A1C: 024C4D5B
	v_add_f32_e32 v38, v92, v38                                // 000000006A20: 024C4D5C
	v_add_f32_e32 v38, v93, v38                                // 000000006A24: 024C4D5D
	v_mfma_f32_32x32x16_fp8_fp8 v[64:79], v[222:223], v[190:191], v[64:79]// 000000006A28: D3F70040 05037DDE
	v_add_f32_e32 v38, v94, v38                                // 000000006A30: 024C4D5E
	v_add_f32_e32 v38, v95, v38                                // 000000006A34: 024C4D5F
	v_add_f32_e32 v38, v96, v38                                // 000000006A38: 024C4D60
	v_add_f32_e32 v38, v97, v38                                // 000000006A3C: 024C4D61
	v_add_f32_e32 v38, v98, v38                                // 000000006A40: 024C4D62
	v_add_f32_e32 v38, v99, v38                                // 000000006A44: 024C4D63
	v_add_f32_e32 v38, v100, v38                               // 000000006A48: 024C4D64
	v_add_f32_e32 v38, v101, v38                               // 000000006A4C: 024C4D65
	v_add_f32_e32 v38, v102, v38                               // 000000006A50: 024C4D66
	v_add_f32_e32 v38, v103, v38                               // 000000006A54: 024C4D67
	v_add_f32_e32 v38, v104, v38                               // 000000006A58: 024C4D68
	v_add_f32_e32 v38, v105, v38                               // 000000006A5C: 024C4D69
	v_add_f32_e32 v38, v106, v38                               // 000000006A60: 024C4D6A
	v_add_f32_e32 v38, v107, v38                               // 000000006A64: 024C4D6B
	v_add_f32_e32 v38, v108, v38                               // 000000006A68: 024C4D6C
	v_add_f32_e32 v38, v109, v38                               // 000000006A6C: 024C4D6D
	v_add_f32_e32 v38, v110, v38                               // 000000006A70: 024C4D6E
	v_add_f32_e32 v38, v111, v38                               // 000000006A74: 024C4D6F
	v_add_f32_e32 v22, v38, v22                                // 000000006A78: 022C2D26
	v_cvt_pk_fp8_f32 v80, v80, v81                             // 000000006A7C: D2A20050 0002A350
	v_cvt_pk_fp8_f32 v80, v82, v83 op_sel:[0,0,1]              // 000000006A84: D2A24050 0002A752
	v_cvt_pk_fp8_f32 v81, v84, v85                             // 000000006A8C: D2A20051 0002AB54
	v_cvt_pk_fp8_f32 v81, v86, v87 op_sel:[0,0,1]              // 000000006A94: D2A24051 0002AF56
	v_cvt_pk_fp8_f32 v82, v88, v89                             // 000000006A9C: D2A20052 0002B358
	v_cvt_pk_fp8_f32 v82, v90, v91 op_sel:[0,0,1]              // 000000006AA4: D2A24052 0002B75A
	v_cvt_pk_fp8_f32 v83, v92, v93                             // 000000006AAC: D2A20053 0002BB5C
	v_cvt_pk_fp8_f32 v83, v94, v95 op_sel:[0,0,1]              // 000000006AB4: D2A24053 0002BF5E
	v_cvt_pk_fp8_f32 v84, v96, v97                             // 000000006ABC: D2A20054 0002C360
	v_cvt_pk_fp8_f32 v84, v98, v99 op_sel:[0,0,1]              // 000000006AC4: D2A24054 0002C762
	v_cvt_pk_fp8_f32 v85, v100, v101                           // 000000006ACC: D2A20055 0002CB64
	v_cvt_pk_fp8_f32 v85, v102, v103 op_sel:[0,0,1]            // 000000006AD4: D2A24055 0002CF66
	v_cvt_pk_fp8_f32 v86, v104, v105                           // 000000006ADC: D2A20056 0002D368
	v_cvt_pk_fp8_f32 v86, v106, v107 op_sel:[0,0,1]            // 000000006AE4: D2A24056 0002D76A
	v_cvt_pk_fp8_f32 v87, v108, v109                           // 000000006AEC: D2A20057 0002DB6C
	v_cvt_pk_fp8_f32 v87, v110, v111 op_sel:[0,0,1]            // 000000006AF4: D2A24057 0002DF6E
	s_nop 0                                                    // 000000006AFC: BF800000
	v_mov_b32_e32 v21, v20                                     // 000000006B00: 7E2A0314
	v_mul_f32_e32 v112, v20, v112                              // 000000006B04: 0AE0E114
	v_mul_f32_e32 v113, v20, v113                              // 000000006B08: 0AE2E314
	v_pk_mul_f32 v[114:115], v[20:21], v[114:115]              // 000000006B0C: D3B14072 1802E514
	v_pk_mul_f32 v[116:117], v[20:21], v[116:117]              // 000000006B14: D3B14074 1802E914
	v_pk_mul_f32 v[118:119], v[20:21], v[118:119]              // 000000006B1C: D3B14076 1802ED14
	v_pk_mul_f32 v[120:121], v[20:21], v[120:121]              // 000000006B24: D3B14078 1802F114
	v_pk_mul_f32 v[122:123], v[20:21], v[122:123]              // 000000006B2C: D3B1407A 1802F514
	v_pk_mul_f32 v[124:125], v[20:21], v[124:125]              // 000000006B34: D3B1407C 1802F914
	v_pk_mul_f32 v[126:127], v[20:21], v[126:127]              // 000000006B3C: D3B1407E 1802FD14
	v_pk_mul_f32 v[128:129], v[20:21], v[128:129]              // 000000006B44: D3B14080 18030114
	v_pk_mul_f32 v[130:131], v[20:21], v[130:131]              // 000000006B4C: D3B14082 18030514
	v_pk_mul_f32 v[132:133], v[20:21], v[132:133]              // 000000006B54: D3B14084 18030914
	v_pk_mul_f32 v[134:135], v[20:21], v[134:135]              // 000000006B5C: D3B14086 18030D14
	v_pk_mul_f32 v[136:137], v[20:21], v[136:137]              // 000000006B64: D3B14088 18031114
	v_pk_mul_f32 v[138:139], v[20:21], v[138:139]              // 000000006B6C: D3B1408A 18031514
	v_pk_mul_f32 v[140:141], v[20:21], v[140:141]              // 000000006B74: D3B1408C 18031914
	v_pk_mul_f32 v[142:143], v[20:21], v[142:143]              // 000000006B7C: D3B1408E 18031D14
	v_pk_mul_f32 v[144:145], v[20:21], v[144:145]              // 000000006B84: D3B14090 18032114
	v_pk_mul_f32 v[146:147], v[20:21], v[146:147]              // 000000006B8C: D3B14092 18032514
	v_pk_mul_f32 v[148:149], v[20:21], v[148:149]              // 000000006B94: D3B14094 18032914
	v_pk_mul_f32 v[150:151], v[20:21], v[150:151]              // 000000006B9C: D3B14096 18032D14
	v_pk_mul_f32 v[152:153], v[20:21], v[152:153]              // 000000006BA4: D3B14098 18033114
	v_pk_mul_f32 v[154:155], v[20:21], v[154:155]              // 000000006BAC: D3B1409A 18033514
	v_pk_mul_f32 v[156:157], v[20:21], v[156:157]              // 000000006BB4: D3B1409C 18033914
	v_pk_mul_f32 v[158:159], v[20:21], v[158:159]              // 000000006BBC: D3B1409E 18033D14
	v_pk_mul_f32 v[160:161], v[20:21], v[160:161]              // 000000006BC4: D3B140A0 18034114
	v_pk_mul_f32 v[162:163], v[20:21], v[162:163]              // 000000006BCC: D3B140A2 18034514
	v_pk_mul_f32 v[164:165], v[20:21], v[164:165]              // 000000006BD4: D3B140A4 18034914
	v_pk_mul_f32 v[166:167], v[20:21], v[166:167]              // 000000006BDC: D3B140A6 18034D14
	v_pk_mul_f32 v[168:169], v[20:21], v[168:169]              // 000000006BE4: D3B140A8 18035114
	v_pk_mul_f32 v[170:171], v[20:21], v[170:171]              // 000000006BEC: D3B140AA 18035514
	v_pk_mul_f32 v[172:173], v[20:21], v[172:173]              // 000000006BF4: D3B140AC 18035914
	v_pk_mul_f32 v[174:175], v[20:21], v[174:175]              // 000000006BFC: D3B140AE 18035D14
	s_barrier                                                  // 000000006C04: BF8A0000
	s_nop 0                                                    // 000000006C08: BF800000
	s_cmp_lt_i32 s72, s76                                      // 000000006C0C: BF044C48
	s_cbranch_scc1 label_0CC8                                  // 000000006C10: BF850083
	s_sub_i32 s34, s7, s72                                     // 000000006C14: 81A24807
	v_sub_i32 v16, s34, v30                                    // 000000006C18: D29D0010 00023C22
	v_cmp_lt_i32_e64 s[50:51], 0, v16                          // 000000006C20: D0C10032 00022080
	v_cmp_lt_i32_e64 s[52:53], 1, v16                          // 000000006C28: D0C10034 00022081
	v_cndmask_b32_e64 v48, v31, v48, s[50:51]                  // 000000006C30: D1000030 00CA611F
	v_cndmask_b32_e64 v49, v31, v49, s[52:53]                  // 000000006C38: D1000031 00D2631F
	v_cmp_lt_i32_e64 s[50:51], 2, v16                          // 000000006C40: D0C10032 00022082
	v_cmp_lt_i32_e64 s[52:53], 3, v16                          // 000000006C48: D0C10034 00022083
	v_cndmask_b32_e64 v50, v31, v50, s[50:51]                  // 000000006C50: D1000032 00CA651F
	v_cndmask_b32_e64 v51, v31, v51, s[52:53]                  // 000000006C58: D1000033 00D2671F
	v_cmp_lt_i32_e64 s[50:51], 8, v16                          // 000000006C60: D0C10032 00022088
	v_cmp_lt_i32_e64 s[52:53], 9, v16                          // 000000006C68: D0C10034 00022089
	v_cndmask_b32_e64 v52, v31, v52, s[50:51]                  // 000000006C70: D1000034 00CA691F
	v_cndmask_b32_e64 v53, v31, v53, s[52:53]                  // 000000006C78: D1000035 00D26B1F
	v_cmp_lt_i32_e64 s[50:51], 10, v16                         // 000000006C80: D0C10032 0002208A
	v_cmp_lt_i32_e64 s[52:53], 11, v16                         // 000000006C88: D0C10034 0002208B
	v_cndmask_b32_e64 v54, v31, v54, s[50:51]                  // 000000006C90: D1000036 00CA6D1F
	v_cndmask_b32_e64 v55, v31, v55, s[52:53]                  // 000000006C98: D1000037 00D26F1F
	v_cmp_lt_i32_e64 s[50:51], 16, v16                         // 000000006CA0: D0C10032 00022090
	v_cmp_lt_i32_e64 s[52:53], 17, v16                         // 000000006CA8: D0C10034 00022091
	v_cndmask_b32_e64 v56, v31, v56, s[50:51]                  // 000000006CB0: D1000038 00CA711F
	v_cndmask_b32_e64 v57, v31, v57, s[52:53]                  // 000000006CB8: D1000039 00D2731F
	v_cmp_lt_i32_e64 s[50:51], 18, v16                         // 000000006CC0: D0C10032 00022092
	v_cmp_lt_i32_e64 s[52:53], 19, v16                         // 000000006CC8: D0C10034 00022093
	v_cndmask_b32_e64 v58, v31, v58, s[50:51]                  // 000000006CD0: D100003A 00CA751F
	v_cndmask_b32_e64 v59, v31, v59, s[52:53]                  // 000000006CD8: D100003B 00D2771F
	v_cmp_lt_i32_e64 s[50:51], 24, v16                         // 000000006CE0: D0C10032 00022098
	v_cmp_lt_i32_e64 s[52:53], 25, v16                         // 000000006CE8: D0C10034 00022099
	v_cndmask_b32_e64 v60, v31, v60, s[50:51]                  // 000000006CF0: D100003C 00CA791F
	v_cndmask_b32_e64 v61, v31, v61, s[52:53]                  // 000000006CF8: D100003D 00D27B1F
	v_cmp_lt_i32_e64 s[50:51], 26, v16                         // 000000006D00: D0C10032 0002209A
	v_cmp_lt_i32_e64 s[52:53], 27, v16                         // 000000006D08: D0C10034 0002209B
	v_cndmask_b32_e64 v62, v31, v62, s[50:51]                  // 000000006D10: D100003E 00CA7D1F
	v_cndmask_b32_e64 v63, v31, v63, s[52:53]                  // 000000006D18: D100003F 00D27F1F
	v_cmp_lt_i32_e64 s[50:51], 32, v16                         // 000000006D20: D0C10032 000220A0
	v_cmp_lt_i32_e64 s[52:53], 33, v16                         // 000000006D28: D0C10034 000220A1
	v_cndmask_b32_e64 v64, v31, v64, s[50:51]                  // 000000006D30: D1000040 00CA811F
	v_cndmask_b32_e64 v65, v31, v65, s[52:53]                  // 000000006D38: D1000041 00D2831F
	v_cmp_lt_i32_e64 s[50:51], 34, v16                         // 000000006D40: D0C10032 000220A2
	v_cmp_lt_i32_e64 s[52:53], 35, v16                         // 000000006D48: D0C10034 000220A3
	v_cndmask_b32_e64 v66, v31, v66, s[50:51]                  // 000000006D50: D1000042 00CA851F
	v_cndmask_b32_e64 v67, v31, v67, s[52:53]                  // 000000006D58: D1000043 00D2871F
	v_cmp_lt_i32_e64 s[50:51], 40, v16                         // 000000006D60: D0C10032 000220A8
	v_cmp_lt_i32_e64 s[52:53], 41, v16                         // 000000006D68: D0C10034 000220A9
	v_cndmask_b32_e64 v68, v31, v68, s[50:51]                  // 000000006D70: D1000044 00CA891F
	v_cndmask_b32_e64 v69, v31, v69, s[52:53]                  // 000000006D78: D1000045 00D28B1F
	v_cmp_lt_i32_e64 s[50:51], 42, v16                         // 000000006D80: D0C10032 000220AA
	v_cmp_lt_i32_e64 s[52:53], 43, v16                         // 000000006D88: D0C10034 000220AB
	v_cndmask_b32_e64 v70, v31, v70, s[50:51]                  // 000000006D90: D1000046 00CA8D1F
	v_cndmask_b32_e64 v71, v31, v71, s[52:53]                  // 000000006D98: D1000047 00D28F1F
	v_cmp_lt_i32_e64 s[50:51], 48, v16                         // 000000006DA0: D0C10032 000220B0
	v_cmp_lt_i32_e64 s[52:53], 49, v16                         // 000000006DA8: D0C10034 000220B1
	v_cndmask_b32_e64 v72, v31, v72, s[50:51]                  // 000000006DB0: D1000048 00CA911F
	v_cndmask_b32_e64 v73, v31, v73, s[52:53]                  // 000000006DB8: D1000049 00D2931F
	v_cmp_lt_i32_e64 s[50:51], 50, v16                         // 000000006DC0: D0C10032 000220B2
	v_cmp_lt_i32_e64 s[52:53], 51, v16                         // 000000006DC8: D0C10034 000220B3
	v_cndmask_b32_e64 v74, v31, v74, s[50:51]                  // 000000006DD0: D100004A 00CA951F
	v_cndmask_b32_e64 v75, v31, v75, s[52:53]                  // 000000006DD8: D100004B 00D2971F
	v_cmp_lt_i32_e64 s[50:51], 56, v16                         // 000000006DE0: D0C10032 000220B8
	v_cmp_lt_i32_e64 s[52:53], 57, v16                         // 000000006DE8: D0C10034 000220B9
	v_cndmask_b32_e64 v76, v31, v76, s[50:51]                  // 000000006DF0: D100004C 00CA991F
	v_cndmask_b32_e64 v77, v31, v77, s[52:53]                  // 000000006DF8: D100004D 00D29B1F
	v_cmp_lt_i32_e64 s[50:51], 58, v16                         // 000000006E00: D0C10032 000220BA
	v_cmp_lt_i32_e64 s[52:53], 59, v16                         // 000000006E08: D0C10034 000220BB
	v_cndmask_b32_e64 v78, v31, v78, s[50:51]                  // 000000006E10: D100004E 00CA9D1F
	v_cndmask_b32_e64 v79, v31, v79, s[52:53]                  // 000000006E18: D100004F 00D29F1F

0000000000006e20 <label_0CC8>:
	s_nop 0                                                    // 000000006E20: BF800000
	s_mov_b32 m0, s54                                          // 000000006E24: BEFC0036
	ds_read_b32 v192, v13 offset:17408                         // 000000006E28: D86C4400 C000000D
	ds_read_b32 v193, v13 offset:17664                         // 000000006E30: D86C4500 C100000D
	ds_read_b32 v194, v13 offset:17920                         // 000000006E38: D86C4600 C200000D
	ds_read_b32 v195, v13 offset:18176                         // 000000006E40: D86C4700 C300000D
	ds_read_b32 v196, v13 offset:18432                         // 000000006E48: D86C4800 C400000D
	ds_read_b32 v197, v13 offset:18688                         // 000000006E50: D86C4900 C500000D
	ds_read_b32 v198, v13 offset:18944                         // 000000006E58: D86C4A00 C600000D
	ds_read_b32 v199, v13 offset:19200                         // 000000006E60: D86C4B00 C700000D
	s_nop 15                                                   // 000000006E68: BF80000F
	s_nop 15                                                   // 000000006E6C: BF80000F
	buffer_load_dword v4, s[12:15], s57 offen lds              // 000000006E70: E0511000 39030004
	s_add_u32 m0, 0x880, m0                                    // 000000006E78: 807C7CFF 00000880
	ds_read_b32 v200, v13 offset:17440                         // 000000006E80: D86C4420 C800000D
	ds_read_b32 v201, v13 offset:17696                         // 000000006E88: D86C4520 C900000D
	ds_read_b32 v202, v13 offset:17952                         // 000000006E90: D86C4620 CA00000D
	ds_read_b32 v203, v13 offset:18208                         // 000000006E98: D86C4720 CB00000D
	buffer_load_dword v5, s[12:15], s57 offen lds              // 000000006EA0: E0511000 39030005
	s_add_u32 m0, 0x880, m0                                    // 000000006EA8: 807C7CFF 00000880
	ds_read_b32 v204, v13 offset:18464                         // 000000006EB0: D86C4820 CC00000D
	ds_read_b32 v205, v13 offset:18720                         // 000000006EB8: D86C4920 CD00000D
	ds_read_b32 v206, v13 offset:18976                         // 000000006EC0: D86C4A20 CE00000D
	ds_read_b32 v207, v13 offset:19232                         // 000000006EC8: D86C4B20 CF00000D
	buffer_load_dword v6, s[12:15], s57 offen lds              // 000000006ED0: E0511000 39030006
	s_add_u32 m0, 0x880, m0                                    // 000000006ED8: 807C7CFF 00000880
	ds_read_b32 v208, v13 offset:17472                         // 000000006EE0: D86C4440 D000000D
	ds_read_b32 v209, v13 offset:17728                         // 000000006EE8: D86C4540 D100000D
	ds_read_b32 v210, v13 offset:17984                         // 000000006EF0: D86C4640 D200000D
	ds_read_b32 v211, v13 offset:18240                         // 000000006EF8: D86C4740 D300000D
	buffer_load_dword v7, s[12:15], s57 offen lds              // 000000006F00: E0511000 39030007
	s_add_u32 m0, 0x880, m0                                    // 000000006F08: 807C7CFF 00000880
	ds_read_b32 v212, v13 offset:18496                         // 000000006F10: D86C4840 D400000D
	ds_read_b32 v213, v13 offset:18752                         // 000000006F18: D86C4940 D500000D
	ds_read_b32 v214, v13 offset:19008                         // 000000006F20: D86C4A40 D600000D
	ds_read_b32 v215, v13 offset:19264                         // 000000006F28: D86C4B40 D700000D
	ds_read_b32 v216, v13 offset:17504                         // 000000006F30: D86C4460 D800000D
	ds_read_b32 v217, v13 offset:17760                         // 000000006F38: D86C4560 D900000D
	ds_read_b32 v218, v13 offset:18016                         // 000000006F40: D86C4660 DA00000D
	ds_read_b32 v219, v13 offset:18272                         // 000000006F48: D86C4760 DB00000D
	ds_read_b32 v220, v13 offset:18528                         // 000000006F50: D86C4860 DC00000D
	ds_read_b32 v221, v13 offset:18784                         // 000000006F58: D86C4960 DD00000D
	ds_read_b32 v222, v13 offset:19040                         // 000000006F60: D86C4A60 DE00000D
	ds_read_b32 v223, v13 offset:19296                         // 000000006F68: D86C4B60 DF00000D
	s_add_i32 s57, s64, s57                                    // 000000006F70: 81393940
	s_add_u32 s34, 0x100, s63                                  // 000000006F74: 80223FFF 00000100
	s_cmp_lt_u32 s34, s62                                      // 000000006F7C: BF0A3E22
	s_cselect_b32 s64, s64, 0                                  // 000000006F80: 85408040
	s_add_i32 s72, s72, s73                                    // 000000006F84: 81484948
	s_addk_i32 s63, 0x40                                       // 000000006F88: B73F0040
	s_cmp_lt_i32 s63, s62                                      // 000000006F8C: BF043E3F
	s_waitcnt vmcnt(8) lgkmcnt(0)                              // 000000006F90: BF8C0078
	s_barrier                                                  // 000000006F94: BF8A0000
	v_mfma_f32_32x32x16_fp8_fp8 v[112:127], v[192:193], v[80:81], v[112:127]// 000000006F98: D3F70070 05C2A1C0
	v_max3_f32 v25, v48, v49, v28                              // 000000006FA0: D1D30019 04726330
	v_max3_f32 v25, v50, v51, v25                              // 000000006FA8: D1D30019 04666732
	v_max3_f32 v25, v52, v53, v25                              // 000000006FB0: D1D30019 04666B34
	v_max3_f32 v25, v54, v55, v25                              // 000000006FB8: D1D30019 04666F36
	v_max3_f32 v25, v56, v57, v25                              // 000000006FC0: D1D30019 04667338
	v_max3_f32 v25, v58, v59, v25                              // 000000006FC8: D1D30019 0466773A
	v_max3_f32 v25, v60, v61, v25                              // 000000006FD0: D1D30019 04667B3C
	v_mfma_f32_32x32x16_fp8_fp8 v[112:127], v[194:195], v[82:83], v[112:127]// 000000006FD8: D3F70070 05C2A5C2
	v_max3_f32 v25, v62, v63, v25                              // 000000006FE0: D1D30019 04667F3E
	v_max3_f32 v25, v64, v65, v25                              // 000000006FE8: D1D30019 04668340
	v_max3_f32 v25, v66, v67, v25                              // 000000006FF0: D1D30019 04668742
	v_max3_f32 v25, v68, v69, v25                              // 000000006FF8: D1D30019 04668B44
	v_max3_f32 v25, v70, v71, v25                              // 000000007000: D1D30019 04668F46
	v_max3_f32 v25, v72, v73, v25                              // 000000007008: D1D30019 04669348
	v_max3_f32 v25, v74, v75, v25                              // 000000007010: D1D30019 0466974A
	v_mfma_f32_32x32x16_fp8_fp8 v[112:127], v[196:197], v[84:85], v[112:127]// 000000007018: D3F70070 05C2A9C4
	v_max3_f32 v25, v76, v77, v25                              // 000000007020: D1D30019 04669B4C
	v_max3_f32 v25, v78, v79, v25                              // 000000007028: D1D30019 04669F4E
	ds_permute_b32 v24, v32, v25                               // 000000007030: D87C0000 18001920
	v_mfma_f32_32x32x16_fp8_fp8 v[112:127], v[198:199], v[86:87], v[112:127]// 000000007038: D3F70070 05C2ADC6
	v_nop                                                      // 000000007040: 7E000000
	s_nop 0                                                    // 000000007044: BF800000
	v_mfma_f32_32x32x16_fp8_fp8 v[128:143], v[200:201], v[80:81], v[128:143]// 000000007048: D3F70080 0602A1C8
	v_nop                                                      // 000000007050: 7E000000
	v_mfma_f32_32x32x16_fp8_fp8 v[128:143], v[202:203], v[82:83], v[128:143]// 000000007054: D3F70080 0602A5CA
	s_waitcnt lgkmcnt(0)                                       // 00000000705C: BF8CC07F
	v_max_f32_e32 v25, v24, v25                                // 000000007060: 16323318
	v_sub_f32_e32 v20, v28, v25                                // 000000007064: 0428331C
	v_mov_b32_e32 v28, v25                                     // 000000007068: 7E380319
	v_mul_f32_e32 v27, s74, v25                                // 00000000706C: 0A36324A
	v_mul_f32_e32 v20, s74, v20                                // 000000007070: 0A28284A
	v_mfma_f32_32x32x16_fp8_fp8 v[128:143], v[204:205], v[84:85], v[128:143]// 000000007074: D3F70080 0602A9CC
	v_exp_f32_e32 v20, v20                                     // 00000000707C: 7E284114
	v_fma_f32 v48, v48, s74, -v27                              // 000000007080: D1CB0030 846C9530
	v_fma_f32 v49, v49, s74, -v27                              // 000000007088: D1CB0031 846C9531
	v_fma_f32 v50, v50, s74, -v27                              // 000000007090: D1CB0032 846C9532
	v_mfma_f32_32x32x16_fp8_fp8 v[128:143], v[206:207], v[86:87], v[128:143]// 000000007098: D3F70080 0602ADCE
	v_fma_f32 v51, v51, s74, -v27                              // 0000000070A0: D1CB0033 846C9533
	v_fma_f32 v52, v52, s74, -v27                              // 0000000070A8: D1CB0034 846C9534
	v_fma_f32 v53, v53, s74, -v27                              // 0000000070B0: D1CB0035 846C9535
	v_fma_f32 v54, v54, s74, -v27                              // 0000000070B8: D1CB0036 846C9536
	v_fma_f32 v55, v55, s74, -v27                              // 0000000070C0: D1CB0037 846C9537
	v_fma_f32 v56, v56, s74, -v27                              // 0000000070C8: D1CB0038 846C9538
	v_fma_f32 v57, v57, s74, -v27                              // 0000000070D0: D1CB0039 846C9539
	v_mfma_f32_32x32x16_fp8_fp8 v[144:159], v[208:209], v[80:81], v[144:159]// 0000000070D8: D3F70090 0642A1D0
	v_fma_f32 v58, v58, s74, -v27                              // 0000000070E0: D1CB003A 846C953A
	v_fma_f32 v59, v59, s74, -v27                              // 0000000070E8: D1CB003B 846C953B
	v_fma_f32 v60, v60, s74, -v27                              // 0000000070F0: D1CB003C 846C953C
	v_fma_f32 v61, v61, s74, -v27                              // 0000000070F8: D1CB003D 846C953D
	v_fma_f32 v62, v62, s74, -v27                              // 000000007100: D1CB003E 846C953E
	v_fma_f32 v63, v63, s74, -v27                              // 000000007108: D1CB003F 846C953F
	v_fma_f32 v64, v64, s74, -v27                              // 000000007110: D1CB0040 846C9540
	v_mfma_f32_32x32x16_fp8_fp8 v[144:159], v[210:211], v[82:83], v[144:159]// 000000007118: D3F70090 0642A5D2
	v_fma_f32 v65, v65, s74, -v27                              // 000000007120: D1CB0041 846C9541
	v_fma_f32 v66, v66, s74, -v27                              // 000000007128: D1CB0042 846C9542
	v_fma_f32 v67, v67, s74, -v27                              // 000000007130: D1CB0043 846C9543
	v_fma_f32 v68, v68, s74, -v27                              // 000000007138: D1CB0044 846C9544
	v_fma_f32 v69, v69, s74, -v27                              // 000000007140: D1CB0045 846C9545
	v_fma_f32 v70, v70, s74, -v27                              // 000000007148: D1CB0046 846C9546
	v_fma_f32 v71, v71, s74, -v27                              // 000000007150: D1CB0047 846C9547
	v_mfma_f32_32x32x16_fp8_fp8 v[144:159], v[212:213], v[84:85], v[144:159]// 000000007158: D3F70090 0642A9D4
	v_fma_f32 v72, v72, s74, -v27                              // 000000007160: D1CB0048 846C9548
	v_fma_f32 v73, v73, s74, -v27                              // 000000007168: D1CB0049 846C9549
	v_fma_f32 v74, v74, s74, -v27                              // 000000007170: D1CB004A 846C954A
	v_fma_f32 v75, v75, s74, -v27                              // 000000007178: D1CB004B 846C954B
	v_fma_f32 v76, v76, s74, -v27                              // 000000007180: D1CB004C 846C954C
	v_fma_f32 v77, v77, s74, -v27                              // 000000007188: D1CB004D 846C954D
	v_fma_f32 v78, v78, s74, -v27                              // 000000007190: D1CB004E 846C954E
	v_mfma_f32_32x32x16_fp8_fp8 v[144:159], v[214:215], v[86:87], v[144:159]// 000000007198: D3F70090 0642ADD6
	v_fma_f32 v79, v79, s74, -v27                              // 0000000071A0: D1CB004F 846C954F
	v_exp_f32_e32 v48, v48                                     // 0000000071A8: 7E604130
	v_exp_f32_e32 v49, v49                                     // 0000000071AC: 7E624131
	v_mfma_f32_32x32x16_fp8_fp8 v[160:175], v[216:217], v[80:81], v[160:175]// 0000000071B0: D3F700A0 0682A1D8
	v_exp_f32_e32 v50, v50                                     // 0000000071B8: 7E644132
	v_exp_f32_e32 v51, v51                                     // 0000000071BC: 7E664133
	v_mfma_f32_32x32x16_fp8_fp8 v[160:175], v[218:219], v[82:83], v[160:175]// 0000000071C0: D3F700A0 0682A5DA
	v_exp_f32_e32 v52, v52                                     // 0000000071C8: 7E684134
	v_exp_f32_e32 v53, v53                                     // 0000000071CC: 7E6A4135
	v_mfma_f32_32x32x16_fp8_fp8 v[160:175], v[220:221], v[84:85], v[160:175]// 0000000071D0: D3F700A0 0682A9DC
	v_exp_f32_e32 v54, v54                                     // 0000000071D8: 7E6C4136
	v_exp_f32_e32 v55, v55                                     // 0000000071DC: 7E6E4137
	v_mfma_f32_32x32x16_fp8_fp8 v[160:175], v[222:223], v[86:87], v[160:175]// 0000000071E0: D3F700A0 0682ADDE
	s_cbranch_scc0 label_0DBC                                  // 0000000071E8: BF840001
	s_branch label_08D9                                        // 0000000071EC: BF82FB1D

00000000000071f0 <label_0DBC>:
	s_add_u32 s34, s62, 63                                     // 0000000071F0: 8022BF3E
	s_lshr_b32 s34, s34, 6                                     // 0000000071F4: 8F228622
	s_and_b32 s34, 1, s34                                      // 0000000071F8: 86222281
	s_cmp_lt_i32 s34, 1                                        // 0000000071FC: BF048122
	s_cbranch_scc0 label_0EDB                                  // 000000007200: BF84011A
	s_waitcnt vmcnt(4)                                         // 000000007204: BF8C0F74
	s_barrier                                                  // 000000007208: BF8A0000
	s_nop 0                                                    // 00000000720C: BF800000
	v_perm_b32 v16, v229, v228, s69                            // 000000007210: D1ED0010 0117C9E5
	v_perm_b32 v17, v229, v228, s70                            // 000000007218: D1ED0011 011BC9E5
	v_perm_b32 v18, v231, v230, s69                            // 000000007220: D1ED0012 0117CDE7
	v_perm_b32 v19, v231, v230, s70                            // 000000007228: D1ED0013 011BCDE7
	v_perm_b32 v232, v18, v16, s68                             // 000000007230: D1ED00E8 01122112
	v_perm_b32 v233, v18, v16, s67                             // 000000007238: D1ED00E9 010E2112
	v_perm_b32 v234, v19, v17, s68                             // 000000007240: D1ED00EA 01122313
	v_perm_b32 v235, v19, v17, s67                             // 000000007248: D1ED00EB 010E2313
	ds_write_b32 v14, v232 offset:17408                        // 000000007250: D81A4400 0000E80E
	ds_write_b32 v14, v233 offset:19488                        // 000000007258: D81A4C20 0000E90E
	ds_write_b32 v14, v234 offset:21568                        // 000000007260: D81A5440 0000EA0E
	ds_write_b32 v14, v235 offset:23648                        // 000000007268: D81A5C60 0000EB0E
	s_waitcnt lgkmcnt(0)                                       // 000000007270: BF8CC07F
	s_barrier                                                  // 000000007274: BF8A0000
	ds_read_b32 v192, v13 offset:17408                         // 000000007278: D86C4400 C000000D
	ds_read_b32 v193, v13 offset:17664                         // 000000007280: D86C4500 C100000D
	ds_read_b32 v194, v13 offset:17920                         // 000000007288: D86C4600 C200000D
	ds_read_b32 v195, v13 offset:18176                         // 000000007290: D86C4700 C300000D
	ds_read_b32 v196, v13 offset:18432                         // 000000007298: D86C4800 C400000D
	ds_read_b32 v197, v13 offset:18688                         // 0000000072A0: D86C4900 C500000D
	ds_read_b32 v198, v13 offset:18944                         // 0000000072A8: D86C4A00 C600000D
	ds_read_b32 v199, v13 offset:19200                         // 0000000072B0: D86C4B00 C700000D
	ds_read_b32 v200, v13 offset:17440                         // 0000000072B8: D86C4420 C800000D
	ds_read_b32 v201, v13 offset:17696                         // 0000000072C0: D86C4520 C900000D
	ds_read_b32 v202, v13 offset:17952                         // 0000000072C8: D86C4620 CA00000D
	ds_read_b32 v203, v13 offset:18208                         // 0000000072D0: D86C4720 CB00000D
	ds_read_b32 v204, v13 offset:18464                         // 0000000072D8: D86C4820 CC00000D
	ds_read_b32 v205, v13 offset:18720                         // 0000000072E0: D86C4920 CD00000D
	ds_read_b32 v206, v13 offset:18976                         // 0000000072E8: D86C4A20 CE00000D
	ds_read_b32 v207, v13 offset:19232                         // 0000000072F0: D86C4B20 CF00000D
	ds_read_b32 v208, v13 offset:17472                         // 0000000072F8: D86C4440 D000000D
	ds_read_b32 v209, v13 offset:17728                         // 000000007300: D86C4540 D100000D
	ds_read_b32 v210, v13 offset:17984                         // 000000007308: D86C4640 D200000D
	ds_read_b32 v211, v13 offset:18240                         // 000000007310: D86C4740 D300000D
	ds_read_b32 v212, v13 offset:18496                         // 000000007318: D86C4840 D400000D
	ds_read_b32 v213, v13 offset:18752                         // 000000007320: D86C4940 D500000D
	ds_read_b32 v214, v13 offset:19008                         // 000000007328: D86C4A40 D600000D
	ds_read_b32 v215, v13 offset:19264                         // 000000007330: D86C4B40 D700000D
	ds_read_b32 v216, v13 offset:17504                         // 000000007338: D86C4460 D800000D
	ds_read_b32 v217, v13 offset:17760                         // 000000007340: D86C4560 D900000D
	ds_read_b32 v218, v13 offset:18016                         // 000000007348: D86C4660 DA00000D
	ds_read_b32 v219, v13 offset:18272                         // 000000007350: D86C4760 DB00000D
	ds_read_b32 v220, v13 offset:18528                         // 000000007358: D86C4860 DC00000D
	ds_read_b32 v221, v13 offset:18784                         // 000000007360: D86C4960 DD00000D
	ds_read_b32 v222, v13 offset:19040                         // 000000007368: D86C4A60 DE00000D
	ds_read_b32 v223, v13 offset:19296                         // 000000007370: D86C4B60 DF00000D
	v_exp_f32_e32 v88, v88                                     // 000000007378: 7EB04158
	v_exp_f32_e32 v89, v89                                     // 00000000737C: 7EB24159
	v_exp_f32_e32 v90, v90                                     // 000000007380: 7EB4415A
	v_exp_f32_e32 v91, v91                                     // 000000007384: 7EB6415B
	v_exp_f32_e32 v92, v92                                     // 000000007388: 7EB8415C
	v_exp_f32_e32 v93, v93                                     // 00000000738C: 7EBA415D
	v_exp_f32_e32 v94, v94                                     // 000000007390: 7EBC415E
	v_exp_f32_e32 v95, v95                                     // 000000007394: 7EBE415F
	v_exp_f32_e32 v96, v96                                     // 000000007398: 7EC04160
	v_exp_f32_e32 v97, v97                                     // 00000000739C: 7EC24161
	v_exp_f32_e32 v98, v98                                     // 0000000073A0: 7EC44162
	v_exp_f32_e32 v99, v99                                     // 0000000073A4: 7EC64163
	v_exp_f32_e32 v100, v100                                   // 0000000073A8: 7EC84164
	v_exp_f32_e32 v101, v101                                   // 0000000073AC: 7ECA4165
	v_exp_f32_e32 v102, v102                                   // 0000000073B0: 7ECC4166
	v_exp_f32_e32 v103, v103                                   // 0000000073B4: 7ECE4167
	v_exp_f32_e32 v104, v104                                   // 0000000073B8: 7ED04168
	v_exp_f32_e32 v105, v105                                   // 0000000073BC: 7ED24169
	v_exp_f32_e32 v106, v106                                   // 0000000073C0: 7ED4416A
	v_exp_f32_e32 v107, v107                                   // 0000000073C4: 7ED6416B
	v_exp_f32_e32 v108, v108                                   // 0000000073C8: 7ED8416C
	v_exp_f32_e32 v109, v109                                   // 0000000073CC: 7EDA416D
	v_exp_f32_e32 v110, v110                                   // 0000000073D0: 7EDC416E
	v_exp_f32_e32 v111, v111                                   // 0000000073D4: 7EDE416F
	v_mul_f32_e32 v22, v20, v22                                // 0000000073D8: 0A2C2D14
	v_add_f32_e32 v38, v81, v80                                // 0000000073DC: 024CA151
	v_add_f32_e32 v38, v82, v38                                // 0000000073E0: 024C4D52
	v_add_f32_e32 v38, v83, v38                                // 0000000073E4: 024C4D53
	v_add_f32_e32 v38, v84, v38                                // 0000000073E8: 024C4D54
	v_add_f32_e32 v38, v85, v38                                // 0000000073EC: 024C4D55
	v_add_f32_e32 v38, v86, v38                                // 0000000073F0: 024C4D56
	v_add_f32_e32 v38, v87, v38                                // 0000000073F4: 024C4D57
	v_add_f32_e32 v38, v88, v38                                // 0000000073F8: 024C4D58
	v_add_f32_e32 v38, v89, v38                                // 0000000073FC: 024C4D59
	v_add_f32_e32 v38, v90, v38                                // 000000007400: 024C4D5A
	v_add_f32_e32 v38, v91, v38                                // 000000007404: 024C4D5B
	v_add_f32_e32 v38, v92, v38                                // 000000007408: 024C4D5C
	v_add_f32_e32 v38, v93, v38                                // 00000000740C: 024C4D5D
	v_add_f32_e32 v38, v94, v38                                // 000000007410: 024C4D5E
	v_add_f32_e32 v38, v95, v38                                // 000000007414: 024C4D5F
	v_add_f32_e32 v38, v96, v38                                // 000000007418: 024C4D60
	v_add_f32_e32 v38, v97, v38                                // 00000000741C: 024C4D61
	v_add_f32_e32 v38, v98, v38                                // 000000007420: 024C4D62
	v_add_f32_e32 v38, v99, v38                                // 000000007424: 024C4D63
	v_add_f32_e32 v38, v100, v38                               // 000000007428: 024C4D64
	v_add_f32_e32 v38, v101, v38                               // 00000000742C: 024C4D65
	v_add_f32_e32 v38, v102, v38                               // 000000007430: 024C4D66
	v_add_f32_e32 v38, v103, v38                               // 000000007434: 024C4D67
	v_add_f32_e32 v38, v104, v38                               // 000000007438: 024C4D68
	v_add_f32_e32 v38, v105, v38                               // 00000000743C: 024C4D69
	v_add_f32_e32 v38, v106, v38                               // 000000007440: 024C4D6A
	v_add_f32_e32 v38, v107, v38                               // 000000007444: 024C4D6B
	v_add_f32_e32 v38, v108, v38                               // 000000007448: 024C4D6C
	v_add_f32_e32 v38, v109, v38                               // 00000000744C: 024C4D6D
	v_add_f32_e32 v38, v110, v38                               // 000000007450: 024C4D6E
	v_add_f32_e32 v38, v111, v38                               // 000000007454: 024C4D6F
	v_add_f32_e32 v22, v38, v22                                // 000000007458: 022C2D26
	v_cvt_pk_fp8_f32 v80, v80, v81                             // 00000000745C: D2A20050 0002A350
	v_cvt_pk_fp8_f32 v80, v82, v83 op_sel:[0,0,1]              // 000000007464: D2A24050 0002A752
	v_cvt_pk_fp8_f32 v81, v84, v85                             // 00000000746C: D2A20051 0002AB54
	v_cvt_pk_fp8_f32 v81, v86, v87 op_sel:[0,0,1]              // 000000007474: D2A24051 0002AF56
	v_cvt_pk_fp8_f32 v82, v88, v89                             // 00000000747C: D2A20052 0002B358
	v_cvt_pk_fp8_f32 v82, v90, v91 op_sel:[0,0,1]              // 000000007484: D2A24052 0002B75A
	v_cvt_pk_fp8_f32 v83, v92, v93                             // 00000000748C: D2A20053 0002BB5C
	v_cvt_pk_fp8_f32 v83, v94, v95 op_sel:[0,0,1]              // 000000007494: D2A24053 0002BF5E
	v_cvt_pk_fp8_f32 v84, v96, v97                             // 00000000749C: D2A20054 0002C360
	v_cvt_pk_fp8_f32 v84, v98, v99 op_sel:[0,0,1]              // 0000000074A4: D2A24054 0002C762
	v_cvt_pk_fp8_f32 v85, v100, v101                           // 0000000074AC: D2A20055 0002CB64
	v_cvt_pk_fp8_f32 v85, v102, v103 op_sel:[0,0,1]            // 0000000074B4: D2A24055 0002CF66
	v_cvt_pk_fp8_f32 v86, v104, v105                           // 0000000074BC: D2A20056 0002D368
	v_cvt_pk_fp8_f32 v86, v106, v107 op_sel:[0,0,1]            // 0000000074C4: D2A24056 0002D76A
	v_cvt_pk_fp8_f32 v87, v108, v109                           // 0000000074CC: D2A20057 0002DB6C
	v_cvt_pk_fp8_f32 v87, v110, v111 op_sel:[0,0,1]            // 0000000074D4: D2A24057 0002DF6E
	v_mov_b32_e32 v21, v20                                     // 0000000074DC: 7E2A0314
	v_mul_f32_e32 v112, v20, v112                              // 0000000074E0: 0AE0E114
	v_mul_f32_e32 v113, v20, v113                              // 0000000074E4: 0AE2E314
	v_pk_mul_f32 v[114:115], v[20:21], v[114:115]              // 0000000074E8: D3B14072 1802E514
	v_pk_mul_f32 v[116:117], v[20:21], v[116:117]              // 0000000074F0: D3B14074 1802E914
	v_pk_mul_f32 v[118:119], v[20:21], v[118:119]              // 0000000074F8: D3B14076 1802ED14
	v_pk_mul_f32 v[120:121], v[20:21], v[120:121]              // 000000007500: D3B14078 1802F114
	v_pk_mul_f32 v[122:123], v[20:21], v[122:123]              // 000000007508: D3B1407A 1802F514
	v_pk_mul_f32 v[124:125], v[20:21], v[124:125]              // 000000007510: D3B1407C 1802F914
	v_pk_mul_f32 v[126:127], v[20:21], v[126:127]              // 000000007518: D3B1407E 1802FD14
	v_pk_mul_f32 v[128:129], v[20:21], v[128:129]              // 000000007520: D3B14080 18030114
	v_pk_mul_f32 v[130:131], v[20:21], v[130:131]              // 000000007528: D3B14082 18030514
	v_pk_mul_f32 v[132:133], v[20:21], v[132:133]              // 000000007530: D3B14084 18030914
	v_pk_mul_f32 v[134:135], v[20:21], v[134:135]              // 000000007538: D3B14086 18030D14
	v_pk_mul_f32 v[136:137], v[20:21], v[136:137]              // 000000007540: D3B14088 18031114
	v_pk_mul_f32 v[138:139], v[20:21], v[138:139]              // 000000007548: D3B1408A 18031514
	v_pk_mul_f32 v[140:141], v[20:21], v[140:141]              // 000000007550: D3B1408C 18031914
	v_pk_mul_f32 v[142:143], v[20:21], v[142:143]              // 000000007558: D3B1408E 18031D14
	v_pk_mul_f32 v[144:145], v[20:21], v[144:145]              // 000000007560: D3B14090 18032114
	v_pk_mul_f32 v[146:147], v[20:21], v[146:147]              // 000000007568: D3B14092 18032514
	v_pk_mul_f32 v[148:149], v[20:21], v[148:149]              // 000000007570: D3B14094 18032914
	v_pk_mul_f32 v[150:151], v[20:21], v[150:151]              // 000000007578: D3B14096 18032D14
	v_pk_mul_f32 v[152:153], v[20:21], v[152:153]              // 000000007580: D3B14098 18033114
	v_pk_mul_f32 v[154:155], v[20:21], v[154:155]              // 000000007588: D3B1409A 18033514
	v_pk_mul_f32 v[156:157], v[20:21], v[156:157]              // 000000007590: D3B1409C 18033914
	v_pk_mul_f32 v[158:159], v[20:21], v[158:159]              // 000000007598: D3B1409E 18033D14
	v_pk_mul_f32 v[160:161], v[20:21], v[160:161]              // 0000000075A0: D3B140A0 18034114
	v_pk_mul_f32 v[162:163], v[20:21], v[162:163]              // 0000000075A8: D3B140A2 18034514
	v_pk_mul_f32 v[164:165], v[20:21], v[164:165]              // 0000000075B0: D3B140A4 18034914
	v_pk_mul_f32 v[166:167], v[20:21], v[166:167]              // 0000000075B8: D3B140A6 18034D14
	v_pk_mul_f32 v[168:169], v[20:21], v[168:169]              // 0000000075C0: D3B140A8 18035114
	v_pk_mul_f32 v[170:171], v[20:21], v[170:171]              // 0000000075C8: D3B140AA 18035514
	v_pk_mul_f32 v[172:173], v[20:21], v[172:173]              // 0000000075D0: D3B140AC 18035914
	v_pk_mul_f32 v[174:175], v[20:21], v[174:175]              // 0000000075D8: D3B140AE 18035D14
	s_waitcnt lgkmcnt(0)                                       // 0000000075E0: BF8CC07F
	s_nop 0                                                    // 0000000075E4: BF800000
	v_mfma_f32_32x32x16_fp8_fp8 v[112:127], v[192:193], v[80:81], v[112:127]// 0000000075E8: D3F70070 05C2A1C0
	v_mfma_f32_32x32x16_fp8_fp8 v[112:127], v[194:195], v[82:83], v[112:127]// 0000000075F0: D3F70070 05C2A5C2
	v_mfma_f32_32x32x16_fp8_fp8 v[112:127], v[196:197], v[84:85], v[112:127]// 0000000075F8: D3F70070 05C2A9C4
	v_mfma_f32_32x32x16_fp8_fp8 v[112:127], v[198:199], v[86:87], v[112:127]// 000000007600: D3F70070 05C2ADC6
	v_mfma_f32_32x32x16_fp8_fp8 v[128:143], v[200:201], v[80:81], v[128:143]// 000000007608: D3F70080 0602A1C8
	v_mfma_f32_32x32x16_fp8_fp8 v[128:143], v[202:203], v[82:83], v[128:143]// 000000007610: D3F70080 0602A5CA
	v_mfma_f32_32x32x16_fp8_fp8 v[128:143], v[204:205], v[84:85], v[128:143]// 000000007618: D3F70080 0602A9CC
	v_mfma_f32_32x32x16_fp8_fp8 v[128:143], v[206:207], v[86:87], v[128:143]// 000000007620: D3F70080 0602ADCE
	v_mfma_f32_32x32x16_fp8_fp8 v[144:159], v[208:209], v[80:81], v[144:159]// 000000007628: D3F70090 0642A1D0
	v_mfma_f32_32x32x16_fp8_fp8 v[144:159], v[210:211], v[82:83], v[144:159]// 000000007630: D3F70090 0642A5D2
	v_mfma_f32_32x32x16_fp8_fp8 v[144:159], v[212:213], v[84:85], v[144:159]// 000000007638: D3F70090 0642A9D4
	v_mfma_f32_32x32x16_fp8_fp8 v[144:159], v[214:215], v[86:87], v[144:159]// 000000007640: D3F70090 0642ADD6
	v_mfma_f32_32x32x16_fp8_fp8 v[160:175], v[216:217], v[80:81], v[160:175]// 000000007648: D3F700A0 0682A1D8
	v_mfma_f32_32x32x16_fp8_fp8 v[160:175], v[218:219], v[82:83], v[160:175]// 000000007650: D3F700A0 0682A5DA
	v_mfma_f32_32x32x16_fp8_fp8 v[160:175], v[220:221], v[84:85], v[160:175]// 000000007658: D3F700A0 0682A9DC
	v_mfma_f32_32x32x16_fp8_fp8 v[160:175], v[222:223], v[86:87], v[160:175]// 000000007660: D3F700A0 0682ADDE
	s_branch label_0FF4                                        // 000000007668: BF820119

000000000000766c <label_0EDB>:
	s_waitcnt vmcnt(4)                                         // 00000000766C: BF8C0F74
	s_barrier                                                  // 000000007670: BF8A0000
	s_nop 0                                                    // 000000007674: BF800000
	v_perm_b32 v16, v225, v224, s69                            // 000000007678: D1ED0010 0117C1E1
	v_perm_b32 v17, v225, v224, s70                            // 000000007680: D1ED0011 011BC1E1
	v_perm_b32 v18, v227, v226, s69                            // 000000007688: D1ED0012 0117C5E3
	v_perm_b32 v19, v227, v226, s70                            // 000000007690: D1ED0013 011BC5E3
	v_perm_b32 v232, v18, v16, s68                             // 000000007698: D1ED00E8 01122112
	v_perm_b32 v233, v18, v16, s67                             // 0000000076A0: D1ED00E9 010E2112
	v_perm_b32 v234, v19, v17, s68                             // 0000000076A8: D1ED00EA 01122313
	v_perm_b32 v235, v19, v17, s67                             // 0000000076B0: D1ED00EB 010E2313
	ds_write_b32 v14, v232 offset:17408                        // 0000000076B8: D81A4400 0000E80E
	ds_write_b32 v14, v233 offset:19488                        // 0000000076C0: D81A4C20 0000E90E
	ds_write_b32 v14, v234 offset:21568                        // 0000000076C8: D81A5440 0000EA0E
	ds_write_b32 v14, v235 offset:23648                        // 0000000076D0: D81A5C60 0000EB0E
	s_waitcnt lgkmcnt(0)                                       // 0000000076D8: BF8CC07F
	s_barrier                                                  // 0000000076DC: BF8A0000
	ds_read_b32 v192, v13 offset:17408                         // 0000000076E0: D86C4400 C000000D
	ds_read_b32 v193, v13 offset:17664                         // 0000000076E8: D86C4500 C100000D
	ds_read_b32 v194, v13 offset:17920                         // 0000000076F0: D86C4600 C200000D
	ds_read_b32 v195, v13 offset:18176                         // 0000000076F8: D86C4700 C300000D
	ds_read_b32 v196, v13 offset:18432                         // 000000007700: D86C4800 C400000D
	ds_read_b32 v197, v13 offset:18688                         // 000000007708: D86C4900 C500000D
	ds_read_b32 v198, v13 offset:18944                         // 000000007710: D86C4A00 C600000D
	ds_read_b32 v199, v13 offset:19200                         // 000000007718: D86C4B00 C700000D
	ds_read_b32 v200, v13 offset:17440                         // 000000007720: D86C4420 C800000D
	ds_read_b32 v201, v13 offset:17696                         // 000000007728: D86C4520 C900000D
	ds_read_b32 v202, v13 offset:17952                         // 000000007730: D86C4620 CA00000D
	ds_read_b32 v203, v13 offset:18208                         // 000000007738: D86C4720 CB00000D
	ds_read_b32 v204, v13 offset:18464                         // 000000007740: D86C4820 CC00000D
	ds_read_b32 v205, v13 offset:18720                         // 000000007748: D86C4920 CD00000D
	ds_read_b32 v206, v13 offset:18976                         // 000000007750: D86C4A20 CE00000D
	ds_read_b32 v207, v13 offset:19232                         // 000000007758: D86C4B20 CF00000D
	ds_read_b32 v208, v13 offset:17472                         // 000000007760: D86C4440 D000000D
	ds_read_b32 v209, v13 offset:17728                         // 000000007768: D86C4540 D100000D
	ds_read_b32 v210, v13 offset:17984                         // 000000007770: D86C4640 D200000D
	ds_read_b32 v211, v13 offset:18240                         // 000000007778: D86C4740 D300000D
	ds_read_b32 v212, v13 offset:18496                         // 000000007780: D86C4840 D400000D
	ds_read_b32 v213, v13 offset:18752                         // 000000007788: D86C4940 D500000D
	ds_read_b32 v214, v13 offset:19008                         // 000000007790: D86C4A40 D600000D
	ds_read_b32 v215, v13 offset:19264                         // 000000007798: D86C4B40 D700000D
	ds_read_b32 v216, v13 offset:17504                         // 0000000077A0: D86C4460 D800000D
	ds_read_b32 v217, v13 offset:17760                         // 0000000077A8: D86C4560 D900000D
	ds_read_b32 v218, v13 offset:18016                         // 0000000077B0: D86C4660 DA00000D
	ds_read_b32 v219, v13 offset:18272                         // 0000000077B8: D86C4760 DB00000D
	ds_read_b32 v220, v13 offset:18528                         // 0000000077C0: D86C4860 DC00000D
	ds_read_b32 v221, v13 offset:18784                         // 0000000077C8: D86C4960 DD00000D
	ds_read_b32 v222, v13 offset:19040                         // 0000000077D0: D86C4A60 DE00000D
	ds_read_b32 v223, v13 offset:19296                         // 0000000077D8: D86C4B60 DF00000D
	v_exp_f32_e32 v56, v56                                     // 0000000077E0: 7E704138
	v_exp_f32_e32 v57, v57                                     // 0000000077E4: 7E724139
	v_exp_f32_e32 v58, v58                                     // 0000000077E8: 7E74413A
	v_exp_f32_e32 v59, v59                                     // 0000000077EC: 7E76413B
	v_exp_f32_e32 v60, v60                                     // 0000000077F0: 7E78413C
	v_exp_f32_e32 v61, v61                                     // 0000000077F4: 7E7A413D
	v_exp_f32_e32 v62, v62                                     // 0000000077F8: 7E7C413E
	v_exp_f32_e32 v63, v63                                     // 0000000077FC: 7E7E413F
	v_exp_f32_e32 v64, v64                                     // 000000007800: 7E804140
	v_exp_f32_e32 v65, v65                                     // 000000007804: 7E824141
	v_exp_f32_e32 v66, v66                                     // 000000007808: 7E844142
	v_exp_f32_e32 v67, v67                                     // 00000000780C: 7E864143
	v_exp_f32_e32 v68, v68                                     // 000000007810: 7E884144
	v_exp_f32_e32 v69, v69                                     // 000000007814: 7E8A4145
	v_exp_f32_e32 v70, v70                                     // 000000007818: 7E8C4146
	v_exp_f32_e32 v71, v71                                     // 00000000781C: 7E8E4147
	v_exp_f32_e32 v72, v72                                     // 000000007820: 7E904148
	v_exp_f32_e32 v73, v73                                     // 000000007824: 7E924149
	v_exp_f32_e32 v74, v74                                     // 000000007828: 7E94414A
	v_exp_f32_e32 v75, v75                                     // 00000000782C: 7E96414B
	v_exp_f32_e32 v76, v76                                     // 000000007830: 7E98414C
	v_exp_f32_e32 v77, v77                                     // 000000007834: 7E9A414D
	v_exp_f32_e32 v78, v78                                     // 000000007838: 7E9C414E
	v_exp_f32_e32 v79, v79                                     // 00000000783C: 7E9E414F
	v_mul_f32_e32 v22, v20, v22                                // 000000007840: 0A2C2D14
	v_add_f32_e32 v38, v49, v48                                // 000000007844: 024C6131
	v_add_f32_e32 v38, v50, v38                                // 000000007848: 024C4D32
	v_add_f32_e32 v38, v51, v38                                // 00000000784C: 024C4D33
	v_add_f32_e32 v38, v52, v38                                // 000000007850: 024C4D34
	v_add_f32_e32 v38, v53, v38                                // 000000007854: 024C4D35
	v_add_f32_e32 v38, v54, v38                                // 000000007858: 024C4D36
	v_add_f32_e32 v38, v55, v38                                // 00000000785C: 024C4D37
	v_add_f32_e32 v38, v56, v38                                // 000000007860: 024C4D38
	v_add_f32_e32 v38, v57, v38                                // 000000007864: 024C4D39
	v_add_f32_e32 v38, v58, v38                                // 000000007868: 024C4D3A
	v_add_f32_e32 v38, v59, v38                                // 00000000786C: 024C4D3B
	v_add_f32_e32 v38, v60, v38                                // 000000007870: 024C4D3C
	v_add_f32_e32 v38, v61, v38                                // 000000007874: 024C4D3D
	v_add_f32_e32 v38, v62, v38                                // 000000007878: 024C4D3E
	v_add_f32_e32 v38, v63, v38                                // 00000000787C: 024C4D3F
	v_add_f32_e32 v38, v64, v38                                // 000000007880: 024C4D40
	v_add_f32_e32 v38, v65, v38                                // 000000007884: 024C4D41
	v_add_f32_e32 v38, v66, v38                                // 000000007888: 024C4D42
	v_add_f32_e32 v38, v67, v38                                // 00000000788C: 024C4D43
	v_add_f32_e32 v38, v68, v38                                // 000000007890: 024C4D44
	v_add_f32_e32 v38, v69, v38                                // 000000007894: 024C4D45
	v_add_f32_e32 v38, v70, v38                                // 000000007898: 024C4D46
	v_add_f32_e32 v38, v71, v38                                // 00000000789C: 024C4D47
	v_add_f32_e32 v38, v72, v38                                // 0000000078A0: 024C4D48
	v_add_f32_e32 v38, v73, v38                                // 0000000078A4: 024C4D49
	v_add_f32_e32 v38, v74, v38                                // 0000000078A8: 024C4D4A
	v_add_f32_e32 v38, v75, v38                                // 0000000078AC: 024C4D4B
	v_add_f32_e32 v38, v76, v38                                // 0000000078B0: 024C4D4C
	v_add_f32_e32 v38, v77, v38                                // 0000000078B4: 024C4D4D
	v_add_f32_e32 v38, v78, v38                                // 0000000078B8: 024C4D4E
	v_add_f32_e32 v38, v79, v38                                // 0000000078BC: 024C4D4F
	v_add_f32_e32 v22, v38, v22                                // 0000000078C0: 022C2D26
	v_cvt_pk_fp8_f32 v48, v48, v49                             // 0000000078C4: D2A20030 00026330
	v_cvt_pk_fp8_f32 v48, v50, v51 op_sel:[0,0,1]              // 0000000078CC: D2A24030 00026732
	v_cvt_pk_fp8_f32 v49, v52, v53                             // 0000000078D4: D2A20031 00026B34
	v_cvt_pk_fp8_f32 v49, v54, v55 op_sel:[0,0,1]              // 0000000078DC: D2A24031 00026F36
	v_cvt_pk_fp8_f32 v50, v56, v57                             // 0000000078E4: D2A20032 00027338
	v_cvt_pk_fp8_f32 v50, v58, v59 op_sel:[0,0,1]              // 0000000078EC: D2A24032 0002773A
	v_cvt_pk_fp8_f32 v51, v60, v61                             // 0000000078F4: D2A20033 00027B3C
	v_cvt_pk_fp8_f32 v51, v62, v63 op_sel:[0,0,1]              // 0000000078FC: D2A24033 00027F3E
	v_cvt_pk_fp8_f32 v52, v64, v65                             // 000000007904: D2A20034 00028340
	v_cvt_pk_fp8_f32 v52, v66, v67 op_sel:[0,0,1]              // 00000000790C: D2A24034 00028742
	v_cvt_pk_fp8_f32 v53, v68, v69                             // 000000007914: D2A20035 00028B44
	v_cvt_pk_fp8_f32 v53, v70, v71 op_sel:[0,0,1]              // 00000000791C: D2A24035 00028F46
	v_cvt_pk_fp8_f32 v54, v72, v73                             // 000000007924: D2A20036 00029348
	v_cvt_pk_fp8_f32 v54, v74, v75 op_sel:[0,0,1]              // 00000000792C: D2A24036 0002974A
	v_cvt_pk_fp8_f32 v55, v76, v77                             // 000000007934: D2A20037 00029B4C
	v_cvt_pk_fp8_f32 v55, v78, v79 op_sel:[0,0,1]              // 00000000793C: D2A24037 00029F4E
	v_mov_b32_e32 v21, v20                                     // 000000007944: 7E2A0314
	v_mul_f32_e32 v112, v20, v112                              // 000000007948: 0AE0E114
	v_mul_f32_e32 v113, v20, v113                              // 00000000794C: 0AE2E314
	v_pk_mul_f32 v[114:115], v[20:21], v[114:115]              // 000000007950: D3B14072 1802E514
	v_pk_mul_f32 v[116:117], v[20:21], v[116:117]              // 000000007958: D3B14074 1802E914
	v_pk_mul_f32 v[118:119], v[20:21], v[118:119]              // 000000007960: D3B14076 1802ED14
	v_pk_mul_f32 v[120:121], v[20:21], v[120:121]              // 000000007968: D3B14078 1802F114
	v_pk_mul_f32 v[122:123], v[20:21], v[122:123]              // 000000007970: D3B1407A 1802F514
	v_pk_mul_f32 v[124:125], v[20:21], v[124:125]              // 000000007978: D3B1407C 1802F914
	v_pk_mul_f32 v[126:127], v[20:21], v[126:127]              // 000000007980: D3B1407E 1802FD14
	v_pk_mul_f32 v[128:129], v[20:21], v[128:129]              // 000000007988: D3B14080 18030114
	v_pk_mul_f32 v[130:131], v[20:21], v[130:131]              // 000000007990: D3B14082 18030514
	v_pk_mul_f32 v[132:133], v[20:21], v[132:133]              // 000000007998: D3B14084 18030914
	v_pk_mul_f32 v[134:135], v[20:21], v[134:135]              // 0000000079A0: D3B14086 18030D14
	v_pk_mul_f32 v[136:137], v[20:21], v[136:137]              // 0000000079A8: D3B14088 18031114
	v_pk_mul_f32 v[138:139], v[20:21], v[138:139]              // 0000000079B0: D3B1408A 18031514
	v_pk_mul_f32 v[140:141], v[20:21], v[140:141]              // 0000000079B8: D3B1408C 18031914
	v_pk_mul_f32 v[142:143], v[20:21], v[142:143]              // 0000000079C0: D3B1408E 18031D14
	v_pk_mul_f32 v[144:145], v[20:21], v[144:145]              // 0000000079C8: D3B14090 18032114
	v_pk_mul_f32 v[146:147], v[20:21], v[146:147]              // 0000000079D0: D3B14092 18032514
	v_pk_mul_f32 v[148:149], v[20:21], v[148:149]              // 0000000079D8: D3B14094 18032914
	v_pk_mul_f32 v[150:151], v[20:21], v[150:151]              // 0000000079E0: D3B14096 18032D14
	v_pk_mul_f32 v[152:153], v[20:21], v[152:153]              // 0000000079E8: D3B14098 18033114
	v_pk_mul_f32 v[154:155], v[20:21], v[154:155]              // 0000000079F0: D3B1409A 18033514
	v_pk_mul_f32 v[156:157], v[20:21], v[156:157]              // 0000000079F8: D3B1409C 18033914
	v_pk_mul_f32 v[158:159], v[20:21], v[158:159]              // 000000007A00: D3B1409E 18033D14
	v_pk_mul_f32 v[160:161], v[20:21], v[160:161]              // 000000007A08: D3B140A0 18034114
	v_pk_mul_f32 v[162:163], v[20:21], v[162:163]              // 000000007A10: D3B140A2 18034514
	v_pk_mul_f32 v[164:165], v[20:21], v[164:165]              // 000000007A18: D3B140A4 18034914
	v_pk_mul_f32 v[166:167], v[20:21], v[166:167]              // 000000007A20: D3B140A6 18034D14
	v_pk_mul_f32 v[168:169], v[20:21], v[168:169]              // 000000007A28: D3B140A8 18035114
	v_pk_mul_f32 v[170:171], v[20:21], v[170:171]              // 000000007A30: D3B140AA 18035514
	v_pk_mul_f32 v[172:173], v[20:21], v[172:173]              // 000000007A38: D3B140AC 18035914
	v_pk_mul_f32 v[174:175], v[20:21], v[174:175]              // 000000007A40: D3B140AE 18035D14
	s_waitcnt lgkmcnt(0)                                       // 000000007A48: BF8CC07F
	s_nop 0                                                    // 000000007A4C: BF800000
	v_mfma_f32_32x32x16_fp8_fp8 v[112:127], v[192:193], v[48:49], v[112:127]// 000000007A50: D3F70070 05C261C0
	v_mfma_f32_32x32x16_fp8_fp8 v[112:127], v[194:195], v[50:51], v[112:127]// 000000007A58: D3F70070 05C265C2
	v_mfma_f32_32x32x16_fp8_fp8 v[112:127], v[196:197], v[52:53], v[112:127]// 000000007A60: D3F70070 05C269C4
	v_mfma_f32_32x32x16_fp8_fp8 v[112:127], v[198:199], v[54:55], v[112:127]// 000000007A68: D3F70070 05C26DC6
	v_mfma_f32_32x32x16_fp8_fp8 v[128:143], v[200:201], v[48:49], v[128:143]// 000000007A70: D3F70080 060261C8
	v_mfma_f32_32x32x16_fp8_fp8 v[128:143], v[202:203], v[50:51], v[128:143]// 000000007A78: D3F70080 060265CA
	v_mfma_f32_32x32x16_fp8_fp8 v[128:143], v[204:205], v[52:53], v[128:143]// 000000007A80: D3F70080 060269CC
	v_mfma_f32_32x32x16_fp8_fp8 v[128:143], v[206:207], v[54:55], v[128:143]// 000000007A88: D3F70080 06026DCE
	v_mfma_f32_32x32x16_fp8_fp8 v[144:159], v[208:209], v[48:49], v[144:159]// 000000007A90: D3F70090 064261D0
	v_mfma_f32_32x32x16_fp8_fp8 v[144:159], v[210:211], v[50:51], v[144:159]// 000000007A98: D3F70090 064265D2
	v_mfma_f32_32x32x16_fp8_fp8 v[144:159], v[212:213], v[52:53], v[144:159]// 000000007AA0: D3F70090 064269D4
	v_mfma_f32_32x32x16_fp8_fp8 v[144:159], v[214:215], v[54:55], v[144:159]// 000000007AA8: D3F70090 06426DD6
	v_mfma_f32_32x32x16_fp8_fp8 v[160:175], v[216:217], v[48:49], v[160:175]// 000000007AB0: D3F700A0 068261D8
	v_mfma_f32_32x32x16_fp8_fp8 v[160:175], v[218:219], v[50:51], v[160:175]// 000000007AB8: D3F700A0 068265DA
	v_mfma_f32_32x32x16_fp8_fp8 v[160:175], v[220:221], v[52:53], v[160:175]// 000000007AC0: D3F700A0 068269DC
	v_mfma_f32_32x32x16_fp8_fp8 v[160:175], v[222:223], v[54:55], v[160:175]// 000000007AC8: D3F700A0 06826DDE

0000000000007ad0 <label_0FF4>:
	s_nop 0                                                    // 000000007AD0: BF800000
	v_cvt_f32_u32_e32 v16, s41                                 // 000000007AD4: 7E200C29
	s_sub_i32 s34, 0, s41                                      // 000000007AD8: 81A22980
	v_rcp_iflag_f32_e32 v16, v16                               // 000000007ADC: 7E204710
	s_nop 0                                                    // 000000007AE0: BF800000
	v_mul_f32_e32 v16, 0x4f7ffffe, v16                         // 000000007AE4: 0A2020FF 4F7FFFFE
	v_cvt_u32_f32_e32 v16, v16                                 // 000000007AEC: 7E200F10
	v_mul_lo_u32 v17, s34, v16                                 // 000000007AF0: D2850011 00022022
	v_mul_hi_u32 v17, v16, v17                                 // 000000007AF8: D2860011 00022310
	v_add_u32_e32 v16, v16, v17                                // 000000007B00: 68202310
	v_mul_hi_u32 v16, s42, v16                                 // 000000007B04: D2860010 0002202A
	v_mul_lo_u32 v17, v16, s41                                 // 000000007B0C: D2850011 00005310
	v_sub_u32_e32 v19, s42, v17                                // 000000007B14: 6A26222A
	v_add_u32_e32 v18, 1, v16                                  // 000000007B18: 68242081
	v_cmp_le_u32_e32 vcc, s41, v19                             // 000000007B1C: 7D962629
	v_subrev_u32_e32 v17, s41, v19                             // 000000007B20: 6C222629
	s_nop 0                                                    // 000000007B24: BF800000
	v_cndmask_b32_e32 v16, v16, v18, vcc                       // 000000007B28: 00202510
	v_cndmask_b32_e32 v19, v19, v17, vcc                       // 000000007B2C: 00262313
	v_add_u32_e32 v17, 1, v16                                  // 000000007B30: 68222081
	v_cmp_le_u32_e32 vcc, s41, v19                             // 000000007B34: 7D962629
	s_nop 1                                                    // 000000007B38: BF800001
	v_cndmask_b32_e32 v19, v16, v17, vcc                       // 000000007B3C: 00262310
	s_nop 3                                                    // 000000007B40: BF800003
	v_readfirstlane_b32 s42, v19                               // 000000007B44: 7E540513
	s_nop 3                                                    // 000000007B48: BF800003
	s_mul_i32 s42, s42, s44                                    // 000000007B4C: 922A2C2A
	v_lshrrev_b32_e32 v16, 3, v0                               // 000000007B50: 20200083
	v_mul_i32_i24_e32 v8, s44, v16                             // 000000007B54: 0C10202C
	v_and_b32_e32 v16, 7, v0                                   // 000000007B58: 26200087
	v_mul_i32_i24_e32 v16, 16, v16                             // 000000007B5C: 0C202090
	v_add_u32_e32 v8, v16, v8                                  // 000000007B60: 68101110
	s_mul_i32 s34, s5, s44                                     // 000000007B64: 92222C05
	s_mul_i32 s34, s34, 32                                     // 000000007B68: 9222A022
	s_add_u32 s34, s42, s34                                    // 000000007B6C: 8022222A
	v_add_u32_e32 v8, s34, v8                                  // 000000007B70: 68101022
	s_mul_i32 s34, s44, 8                                      // 000000007B74: 9222882C
	v_add_u32_e32 v9, s34, v8                                  // 000000007B78: 68121022
	v_add_u32_e32 v10, s34, v9                                 // 000000007B7C: 68141222
	v_add_u32_e32 v11, s34, v10                                // 000000007B80: 68161422
	s_mul_i32 s34, s4, 0x100                                   // 000000007B84: 9222FF04 00000100
	v_and_b32_e32 v3, 31, v0                                   // 000000007B8C: 2606009F
	v_add_u32_e32 v3, s34, v3                                  // 000000007B90: 68060622
	s_mul_i32 s34, s5, 32                                      // 000000007B94: 9222A005
	v_add_u32_e32 v3, s34, v3                                  // 000000007B98: 68060622
	v_lshlrev_b32_e32 v3, 2, v3                                // 000000007B9C: 24060682
	ds_permute_b32 v16, v32, v22                               // 000000007BA0: D87C0000 10001620
	s_waitcnt lgkmcnt(0)                                       // 000000007BA8: BF8CC07F
	v_add_f32_e32 v22, v16, v22                                // 000000007BAC: 022C2D10
	v_mul_f32_e64 v16, v28, s28                                // 000000007BB0: D1050010 0000391C
	v_log_f32_e32 v17, v22                                     // 000000007BB8: 7E224316
	v_cmp_eq_f32_e64 s[34:35], v22, 0                          // 000000007BBC: D0420022 00010116
	s_nop 1                                                    // 000000007BC4: BF800001
	v_rcp_f32_e32 v22, v22                                     // 000000007BC8: 7E2C4516
	s_nop 1                                                    // 000000007BCC: BF800001
	v_cndmask_b32_e64 v22, v22, 0, s[34:35]                    // 000000007BD0: D1000016 00890116
	v_fma_f32 v2, v17, s66, v16                                // 000000007BD8: D1CB0002 04408511
	v_mul_f32_e32 v22, s39, v22                                // 000000007BE0: 0A2C2C27
	v_mov_b32_e32 v23, v22                                     // 000000007BE4: 7E2E0316
	v_lshrrev_b32_e32 v16, 5, v0                               // 000000007BE8: 20200085
	v_mul_i32_i24_e32 v35, 0x42, v16                           // 000000007BEC: 0C4620FF 00000042
	v_and_b32_e32 v16, 31, v0                                  // 000000007BF4: 2620009F
	v_mul_i32_i24_e32 v16, 2, v16                              // 000000007BF8: 0C202082
	v_add_u32_e32 v35, v16, v35                                // 000000007BFC: 68464710
	s_mul_i32 s34, s5, 0x420                                   // 000000007C00: 9222FF05 00000420
	v_add_u32_e32 v35, s34, v35                                // 000000007C08: 68464622
	v_lshlrev_b32_e32 v35, 2, v35                              // 000000007C0C: 24464682
	v_lshrrev_b32_e32 v16, 3, v0                               // 000000007C10: 20200083
	v_mul_i32_i24_e32 v34, 2, v16                              // 000000007C14: 0C442082
	v_and_b32_e32 v16, 7, v0                                   // 000000007C18: 26200087
	v_mul_i32_i24_e32 v16, 0x84, v16                           // 000000007C1C: 0C2020FF 00000084
	v_add_u32_e32 v34, v16, v34                                // 000000007C24: 68444510
	s_mul_i32 s34, s5, 0x420                                   // 000000007C28: 9222FF05 00000420
	v_add_u32_e32 v34, s34, v34                                // 000000007C30: 68444422
	v_lshlrev_b32_e32 v34, 2, v34                              // 000000007C34: 24444482
	s_waitcnt vmcnt(0) expcnt(0) lgkmcnt(0)                    // 000000007C38: BF8C0000
	s_barrier                                                  // 000000007C3C: BF8A0000
	v_pk_mul_f32 v[112:113], v[22:23], v[112:113]              // 000000007C40: D3B14070 1802E116
	v_pk_mul_f32 v[114:115], v[22:23], v[114:115]              // 000000007C48: D3B14072 1802E516
	v_pk_mul_f32 v[116:117], v[22:23], v[116:117]              // 000000007C50: D3B14074 1802E916
	v_pk_mul_f32 v[118:119], v[22:23], v[118:119]              // 000000007C58: D3B14076 1802ED16
	v_pk_mul_f32 v[120:121], v[22:23], v[120:121]              // 000000007C60: D3B14078 1802F116
	v_pk_mul_f32 v[122:123], v[22:23], v[122:123]              // 000000007C68: D3B1407A 1802F516
	v_pk_mul_f32 v[124:125], v[22:23], v[124:125]              // 000000007C70: D3B1407C 1802F916
	v_pk_mul_f32 v[126:127], v[22:23], v[126:127]              // 000000007C78: D3B1407E 1802FD16
	v_pk_mul_f32 v[128:129], v[22:23], v[128:129]              // 000000007C80: D3B14080 18030116
	v_pk_mul_f32 v[130:131], v[22:23], v[130:131]              // 000000007C88: D3B14082 18030516
	v_pk_mul_f32 v[132:133], v[22:23], v[132:133]              // 000000007C90: D3B14084 18030916
	v_pk_mul_f32 v[134:135], v[22:23], v[134:135]              // 000000007C98: D3B14086 18030D16
	v_pk_mul_f32 v[136:137], v[22:23], v[136:137]              // 000000007CA0: D3B14088 18031116
	v_pk_mul_f32 v[138:139], v[22:23], v[138:139]              // 000000007CA8: D3B1408A 18031516
	v_pk_mul_f32 v[140:141], v[22:23], v[140:141]              // 000000007CB0: D3B1408C 18031916
	v_pk_mul_f32 v[142:143], v[22:23], v[142:143]              // 000000007CB8: D3B1408E 18031D16
	v_cmp_u_f32_e64 s[58:59], v112, v112                       // 000000007CC0: D048003A 0002E170
	v_add3_u32 v40, v112, v43, 1                               // 000000007CC8: D1FF0028 02065770
	v_cndmask_b32_e64 v16, v40, v42, s[58:59]                  // 000000007CD0: D1000010 00EA5528
	v_cmp_u_f32_e64 s[58:59], v113, v113                       // 000000007CD8: D048003A 0002E371
	v_add3_u32 v40, v113, v43, 1                               // 000000007CE0: D1FF0028 02065771
	v_cndmask_b32_e64 v17, v40, v42, s[58:59]                  // 000000007CE8: D1000011 00EA5528
	v_perm_b32 v112, v17, v16, s67                             // 000000007CF0: D1ED0070 010E2111
	v_cmp_u_f32_e64 s[58:59], v114, v114                       // 000000007CF8: D048003A 0002E572
	v_add3_u32 v40, v114, v43, 1                               // 000000007D00: D1FF0028 02065772
	v_cndmask_b32_e64 v16, v40, v42, s[58:59]                  // 000000007D08: D1000010 00EA5528
	v_cmp_u_f32_e64 s[58:59], v115, v115                       // 000000007D10: D048003A 0002E773
	v_add3_u32 v40, v115, v43, 1                               // 000000007D18: D1FF0028 02065773
	v_cndmask_b32_e64 v17, v40, v42, s[58:59]                  // 000000007D20: D1000011 00EA5528
	v_perm_b32 v113, v17, v16, s67                             // 000000007D28: D1ED0071 010E2111
	v_cmp_u_f32_e64 s[58:59], v116, v116                       // 000000007D30: D048003A 0002E974
	v_add3_u32 v40, v116, v43, 1                               // 000000007D38: D1FF0028 02065774
	v_cndmask_b32_e64 v16, v40, v42, s[58:59]                  // 000000007D40: D1000010 00EA5528
	v_cmp_u_f32_e64 s[58:59], v117, v117                       // 000000007D48: D048003A 0002EB75
	v_add3_u32 v40, v117, v43, 1                               // 000000007D50: D1FF0028 02065775
	v_cndmask_b32_e64 v17, v40, v42, s[58:59]                  // 000000007D58: D1000011 00EA5528
	v_perm_b32 v114, v17, v16, s67                             // 000000007D60: D1ED0072 010E2111
	v_cmp_u_f32_e64 s[58:59], v118, v118                       // 000000007D68: D048003A 0002ED76
	v_add3_u32 v40, v118, v43, 1                               // 000000007D70: D1FF0028 02065776
	v_cndmask_b32_e64 v16, v40, v42, s[58:59]                  // 000000007D78: D1000010 00EA5528
	v_cmp_u_f32_e64 s[58:59], v119, v119                       // 000000007D80: D048003A 0002EF77
	v_add3_u32 v40, v119, v43, 1                               // 000000007D88: D1FF0028 02065777
	v_cndmask_b32_e64 v17, v40, v42, s[58:59]                  // 000000007D90: D1000011 00EA5528
	v_perm_b32 v115, v17, v16, s67                             // 000000007D98: D1ED0073 010E2111
	v_cmp_u_f32_e64 s[58:59], v120, v120                       // 000000007DA0: D048003A 0002F178
	v_add3_u32 v40, v120, v43, 1                               // 000000007DA8: D1FF0028 02065778
	v_cndmask_b32_e64 v16, v40, v42, s[58:59]                  // 000000007DB0: D1000010 00EA5528
	v_cmp_u_f32_e64 s[58:59], v121, v121                       // 000000007DB8: D048003A 0002F379
	v_add3_u32 v40, v121, v43, 1                               // 000000007DC0: D1FF0028 02065779
	v_cndmask_b32_e64 v17, v40, v42, s[58:59]                  // 000000007DC8: D1000011 00EA5528
	v_perm_b32 v116, v17, v16, s67                             // 000000007DD0: D1ED0074 010E2111
	v_cmp_u_f32_e64 s[58:59], v122, v122                       // 000000007DD8: D048003A 0002F57A
	v_add3_u32 v40, v122, v43, 1                               // 000000007DE0: D1FF0028 0206577A
	v_cndmask_b32_e64 v16, v40, v42, s[58:59]                  // 000000007DE8: D1000010 00EA5528
	v_cmp_u_f32_e64 s[58:59], v123, v123                       // 000000007DF0: D048003A 0002F77B
	v_add3_u32 v40, v123, v43, 1                               // 000000007DF8: D1FF0028 0206577B
	v_cndmask_b32_e64 v17, v40, v42, s[58:59]                  // 000000007E00: D1000011 00EA5528
	v_perm_b32 v117, v17, v16, s67                             // 000000007E08: D1ED0075 010E2111
	v_cmp_u_f32_e64 s[58:59], v124, v124                       // 000000007E10: D048003A 0002F97C
	v_add3_u32 v40, v124, v43, 1                               // 000000007E18: D1FF0028 0206577C
	v_cndmask_b32_e64 v16, v40, v42, s[58:59]                  // 000000007E20: D1000010 00EA5528
	v_cmp_u_f32_e64 s[58:59], v125, v125                       // 000000007E28: D048003A 0002FB7D
	v_add3_u32 v40, v125, v43, 1                               // 000000007E30: D1FF0028 0206577D
	v_cndmask_b32_e64 v17, v40, v42, s[58:59]                  // 000000007E38: D1000011 00EA5528
	v_perm_b32 v118, v17, v16, s67                             // 000000007E40: D1ED0076 010E2111
	v_cmp_u_f32_e64 s[58:59], v126, v126                       // 000000007E48: D048003A 0002FD7E
	v_add3_u32 v40, v126, v43, 1                               // 000000007E50: D1FF0028 0206577E
	v_cndmask_b32_e64 v16, v40, v42, s[58:59]                  // 000000007E58: D1000010 00EA5528
	v_cmp_u_f32_e64 s[58:59], v127, v127                       // 000000007E60: D048003A 0002FF7F
	v_add3_u32 v40, v127, v43, 1                               // 000000007E68: D1FF0028 0206577F
	v_cndmask_b32_e64 v17, v40, v42, s[58:59]                  // 000000007E70: D1000011 00EA5528
	v_perm_b32 v119, v17, v16, s67                             // 000000007E78: D1ED0077 010E2111
	v_cmp_u_f32_e64 s[58:59], v128, v128                       // 000000007E80: D048003A 00030180
	v_add3_u32 v40, v128, v43, 1                               // 000000007E88: D1FF0028 02065780
	v_cndmask_b32_e64 v16, v40, v42, s[58:59]                  // 000000007E90: D1000010 00EA5528
	v_cmp_u_f32_e64 s[58:59], v129, v129                       // 000000007E98: D048003A 00030381
	v_add3_u32 v40, v129, v43, 1                               // 000000007EA0: D1FF0028 02065781
	v_cndmask_b32_e64 v17, v40, v42, s[58:59]                  // 000000007EA8: D1000011 00EA5528
	v_perm_b32 v120, v17, v16, s67                             // 000000007EB0: D1ED0078 010E2111
	v_cmp_u_f32_e64 s[58:59], v130, v130                       // 000000007EB8: D048003A 00030582
	v_add3_u32 v40, v130, v43, 1                               // 000000007EC0: D1FF0028 02065782
	v_cndmask_b32_e64 v16, v40, v42, s[58:59]                  // 000000007EC8: D1000010 00EA5528
	v_cmp_u_f32_e64 s[58:59], v131, v131                       // 000000007ED0: D048003A 00030783
	v_add3_u32 v40, v131, v43, 1                               // 000000007ED8: D1FF0028 02065783
	v_cndmask_b32_e64 v17, v40, v42, s[58:59]                  // 000000007EE0: D1000011 00EA5528
	v_perm_b32 v121, v17, v16, s67                             // 000000007EE8: D1ED0079 010E2111
	v_cmp_u_f32_e64 s[58:59], v132, v132                       // 000000007EF0: D048003A 00030984
	v_add3_u32 v40, v132, v43, 1                               // 000000007EF8: D1FF0028 02065784
	v_cndmask_b32_e64 v16, v40, v42, s[58:59]                  // 000000007F00: D1000010 00EA5528
	v_cmp_u_f32_e64 s[58:59], v133, v133                       // 000000007F08: D048003A 00030B85
	v_add3_u32 v40, v133, v43, 1                               // 000000007F10: D1FF0028 02065785
	v_cndmask_b32_e64 v17, v40, v42, s[58:59]                  // 000000007F18: D1000011 00EA5528
	v_perm_b32 v122, v17, v16, s67                             // 000000007F20: D1ED007A 010E2111
	v_cmp_u_f32_e64 s[58:59], v134, v134                       // 000000007F28: D048003A 00030D86
	v_add3_u32 v40, v134, v43, 1                               // 000000007F30: D1FF0028 02065786
	v_cndmask_b32_e64 v16, v40, v42, s[58:59]                  // 000000007F38: D1000010 00EA5528
	v_cmp_u_f32_e64 s[58:59], v135, v135                       // 000000007F40: D048003A 00030F87
	v_add3_u32 v40, v135, v43, 1                               // 000000007F48: D1FF0028 02065787
	v_cndmask_b32_e64 v17, v40, v42, s[58:59]                  // 000000007F50: D1000011 00EA5528
	v_perm_b32 v123, v17, v16, s67                             // 000000007F58: D1ED007B 010E2111
	v_cmp_u_f32_e64 s[58:59], v136, v136                       // 000000007F60: D048003A 00031188
	v_add3_u32 v40, v136, v43, 1                               // 000000007F68: D1FF0028 02065788
	v_cndmask_b32_e64 v16, v40, v42, s[58:59]                  // 000000007F70: D1000010 00EA5528
	v_cmp_u_f32_e64 s[58:59], v137, v137                       // 000000007F78: D048003A 00031389
	v_add3_u32 v40, v137, v43, 1                               // 000000007F80: D1FF0028 02065789
	v_cndmask_b32_e64 v17, v40, v42, s[58:59]                  // 000000007F88: D1000011 00EA5528
	v_perm_b32 v124, v17, v16, s67                             // 000000007F90: D1ED007C 010E2111
	v_cmp_u_f32_e64 s[58:59], v138, v138                       // 000000007F98: D048003A 0003158A
	v_add3_u32 v40, v138, v43, 1                               // 000000007FA0: D1FF0028 0206578A
	v_cndmask_b32_e64 v16, v40, v42, s[58:59]                  // 000000007FA8: D1000010 00EA5528
	v_cmp_u_f32_e64 s[58:59], v139, v139                       // 000000007FB0: D048003A 0003178B
	v_add3_u32 v40, v139, v43, 1                               // 000000007FB8: D1FF0028 0206578B
	v_cndmask_b32_e64 v17, v40, v42, s[58:59]                  // 000000007FC0: D1000011 00EA5528
	v_perm_b32 v125, v17, v16, s67                             // 000000007FC8: D1ED007D 010E2111
	v_cmp_u_f32_e64 s[58:59], v140, v140                       // 000000007FD0: D048003A 0003198C
	v_add3_u32 v40, v140, v43, 1                               // 000000007FD8: D1FF0028 0206578C
	v_cndmask_b32_e64 v16, v40, v42, s[58:59]                  // 000000007FE0: D1000010 00EA5528
	v_cmp_u_f32_e64 s[58:59], v141, v141                       // 000000007FE8: D048003A 00031B8D
	v_add3_u32 v40, v141, v43, 1                               // 000000007FF0: D1FF0028 0206578D
	v_cndmask_b32_e64 v17, v40, v42, s[58:59]                  // 000000007FF8: D1000011 00EA5528
	v_perm_b32 v126, v17, v16, s67                             // 000000008000: D1ED007E 010E2111
	v_cmp_u_f32_e64 s[58:59], v142, v142                       // 000000008008: D048003A 00031D8E
	v_add3_u32 v40, v142, v43, 1                               // 000000008010: D1FF0028 0206578E
	v_cndmask_b32_e64 v16, v40, v42, s[58:59]                  // 000000008018: D1000010 00EA5528
	v_cmp_u_f32_e64 s[58:59], v143, v143                       // 000000008020: D048003A 00031F8F
	v_add3_u32 v40, v143, v43, 1                               // 000000008028: D1FF0028 0206578F
	v_cndmask_b32_e64 v17, v40, v42, s[58:59]                  // 000000008030: D1000011 00EA5528
	v_perm_b32 v127, v17, v16, s67                             // 000000008038: D1ED007F 010E2111
	ds_write_b64 v35, v[112:113]                               // 000000008040: D89A0000 00007023
	ds_write_b64 v35, v[114:115] offset:528                    // 000000008048: D89A0210 00007223
	ds_write_b64 v35, v[116:117] offset:1056                   // 000000008050: D89A0420 00007423
	ds_write_b64 v35, v[118:119] offset:1584                   // 000000008058: D89A0630 00007623
	ds_write_b64 v35, v[120:121] offset:2112                   // 000000008060: D89A0840 00007823
	ds_write_b64 v35, v[122:123] offset:2640                   // 000000008068: D89A0A50 00007A23
	ds_write_b64 v35, v[124:125] offset:3168                   // 000000008070: D89A0C60 00007C23
	ds_write_b64 v35, v[126:127] offset:3696                   // 000000008078: D89A0E70 00007E23
	s_waitcnt vmcnt(0) expcnt(0) lgkmcnt(0)                    // 000000008080: BF8C0000
	ds_read_b64 v[112:113], v34                                // 000000008084: D8EC0000 70000022
	ds_read_b64 v[114:115], v34 offset:264                     // 00000000808C: D8EC0108 72000022
	ds_read_b64 v[116:117], v34 offset:64                      // 000000008094: D8EC0040 74000022
	ds_read_b64 v[118:119], v34 offset:328                     // 00000000809C: D8EC0148 76000022
	ds_read_b64 v[120:121], v34 offset:128                     // 0000000080A4: D8EC0080 78000022
	ds_read_b64 v[122:123], v34 offset:392                     // 0000000080AC: D8EC0188 7A000022
	ds_read_b64 v[124:125], v34 offset:192                     // 0000000080B4: D8EC00C0 7C000022
	ds_read_b64 v[126:127], v34 offset:456                     // 0000000080BC: D8EC01C8 7E000022
	s_waitcnt vmcnt(0) expcnt(0) lgkmcnt(0)                    // 0000000080C4: BF8C0000
	buffer_store_dwordx4 v[112:115], v8, s[20:23], 0 offen     // 0000000080C8: E07C1000 80057008
	buffer_store_dwordx4 v[116:119], v9, s[20:23], 0 offen     // 0000000080D0: E07C1000 80057409
	buffer_store_dwordx4 v[120:123], v10, s[20:23], 0 offen    // 0000000080D8: E07C1000 8005780A
	buffer_store_dwordx4 v[124:127], v11, s[20:23], 0 offen    // 0000000080E0: E07C1000 80057C0B
	v_pk_mul_f32 v[144:145], v[22:23], v[144:145]              // 0000000080E8: D3B14090 18032116
	v_pk_mul_f32 v[146:147], v[22:23], v[146:147]              // 0000000080F0: D3B14092 18032516
	v_pk_mul_f32 v[148:149], v[22:23], v[148:149]              // 0000000080F8: D3B14094 18032916
	v_pk_mul_f32 v[150:151], v[22:23], v[150:151]              // 000000008100: D3B14096 18032D16
	v_pk_mul_f32 v[152:153], v[22:23], v[152:153]              // 000000008108: D3B14098 18033116
	v_pk_mul_f32 v[154:155], v[22:23], v[154:155]              // 000000008110: D3B1409A 18033516
	v_pk_mul_f32 v[156:157], v[22:23], v[156:157]              // 000000008118: D3B1409C 18033916
	v_pk_mul_f32 v[158:159], v[22:23], v[158:159]              // 000000008120: D3B1409E 18033D16
	v_pk_mul_f32 v[160:161], v[22:23], v[160:161]              // 000000008128: D3B140A0 18034116
	v_pk_mul_f32 v[162:163], v[22:23], v[162:163]              // 000000008130: D3B140A2 18034516
	v_pk_mul_f32 v[164:165], v[22:23], v[164:165]              // 000000008138: D3B140A4 18034916
	v_pk_mul_f32 v[166:167], v[22:23], v[166:167]              // 000000008140: D3B140A6 18034D16
	v_pk_mul_f32 v[168:169], v[22:23], v[168:169]              // 000000008148: D3B140A8 18035116
	v_pk_mul_f32 v[170:171], v[22:23], v[170:171]              // 000000008150: D3B140AA 18035516
	v_pk_mul_f32 v[172:173], v[22:23], v[172:173]              // 000000008158: D3B140AC 18035916
	v_pk_mul_f32 v[174:175], v[22:23], v[174:175]              // 000000008160: D3B140AE 18035D16
	v_cmp_u_f32_e64 s[58:59], v144, v144                       // 000000008168: D048003A 00032190
	v_add3_u32 v40, v144, v43, 1                               // 000000008170: D1FF0028 02065790
	v_cndmask_b32_e64 v16, v40, v42, s[58:59]                  // 000000008178: D1000010 00EA5528
	v_cmp_u_f32_e64 s[58:59], v145, v145                       // 000000008180: D048003A 00032391
	v_add3_u32 v40, v145, v43, 1                               // 000000008188: D1FF0028 02065791
	v_cndmask_b32_e64 v17, v40, v42, s[58:59]                  // 000000008190: D1000011 00EA5528
	v_perm_b32 v144, v17, v16, s67                             // 000000008198: D1ED0090 010E2111
	v_cmp_u_f32_e64 s[58:59], v146, v146                       // 0000000081A0: D048003A 00032592
	v_add3_u32 v40, v146, v43, 1                               // 0000000081A8: D1FF0028 02065792
	v_cndmask_b32_e64 v16, v40, v42, s[58:59]                  // 0000000081B0: D1000010 00EA5528
	v_cmp_u_f32_e64 s[58:59], v147, v147                       // 0000000081B8: D048003A 00032793
	v_add3_u32 v40, v147, v43, 1                               // 0000000081C0: D1FF0028 02065793
	v_cndmask_b32_e64 v17, v40, v42, s[58:59]                  // 0000000081C8: D1000011 00EA5528
	v_perm_b32 v145, v17, v16, s67                             // 0000000081D0: D1ED0091 010E2111
	v_cmp_u_f32_e64 s[58:59], v148, v148                       // 0000000081D8: D048003A 00032994
	v_add3_u32 v40, v148, v43, 1                               // 0000000081E0: D1FF0028 02065794
	v_cndmask_b32_e64 v16, v40, v42, s[58:59]                  // 0000000081E8: D1000010 00EA5528
	v_cmp_u_f32_e64 s[58:59], v149, v149                       // 0000000081F0: D048003A 00032B95
	v_add3_u32 v40, v149, v43, 1                               // 0000000081F8: D1FF0028 02065795
	v_cndmask_b32_e64 v17, v40, v42, s[58:59]                  // 000000008200: D1000011 00EA5528
	v_perm_b32 v146, v17, v16, s67                             // 000000008208: D1ED0092 010E2111
	v_cmp_u_f32_e64 s[58:59], v150, v150                       // 000000008210: D048003A 00032D96
	v_add3_u32 v40, v150, v43, 1                               // 000000008218: D1FF0028 02065796
	v_cndmask_b32_e64 v16, v40, v42, s[58:59]                  // 000000008220: D1000010 00EA5528
	v_cmp_u_f32_e64 s[58:59], v151, v151                       // 000000008228: D048003A 00032F97
	v_add3_u32 v40, v151, v43, 1                               // 000000008230: D1FF0028 02065797
	v_cndmask_b32_e64 v17, v40, v42, s[58:59]                  // 000000008238: D1000011 00EA5528
	v_perm_b32 v147, v17, v16, s67                             // 000000008240: D1ED0093 010E2111
	v_cmp_u_f32_e64 s[58:59], v152, v152                       // 000000008248: D048003A 00033198
	v_add3_u32 v40, v152, v43, 1                               // 000000008250: D1FF0028 02065798
	v_cndmask_b32_e64 v16, v40, v42, s[58:59]                  // 000000008258: D1000010 00EA5528
	v_cmp_u_f32_e64 s[58:59], v153, v153                       // 000000008260: D048003A 00033399
	v_add3_u32 v40, v153, v43, 1                               // 000000008268: D1FF0028 02065799
	v_cndmask_b32_e64 v17, v40, v42, s[58:59]                  // 000000008270: D1000011 00EA5528
	v_perm_b32 v148, v17, v16, s67                             // 000000008278: D1ED0094 010E2111
	v_cmp_u_f32_e64 s[58:59], v154, v154                       // 000000008280: D048003A 0003359A
	v_add3_u32 v40, v154, v43, 1                               // 000000008288: D1FF0028 0206579A
	v_cndmask_b32_e64 v16, v40, v42, s[58:59]                  // 000000008290: D1000010 00EA5528
	v_cmp_u_f32_e64 s[58:59], v155, v155                       // 000000008298: D048003A 0003379B
	v_add3_u32 v40, v155, v43, 1                               // 0000000082A0: D1FF0028 0206579B
	v_cndmask_b32_e64 v17, v40, v42, s[58:59]                  // 0000000082A8: D1000011 00EA5528
	v_perm_b32 v149, v17, v16, s67                             // 0000000082B0: D1ED0095 010E2111
	v_cmp_u_f32_e64 s[58:59], v156, v156                       // 0000000082B8: D048003A 0003399C
	v_add3_u32 v40, v156, v43, 1                               // 0000000082C0: D1FF0028 0206579C
	v_cndmask_b32_e64 v16, v40, v42, s[58:59]                  // 0000000082C8: D1000010 00EA5528
	v_cmp_u_f32_e64 s[58:59], v157, v157                       // 0000000082D0: D048003A 00033B9D
	v_add3_u32 v40, v157, v43, 1                               // 0000000082D8: D1FF0028 0206579D
	v_cndmask_b32_e64 v17, v40, v42, s[58:59]                  // 0000000082E0: D1000011 00EA5528
	v_perm_b32 v150, v17, v16, s67                             // 0000000082E8: D1ED0096 010E2111
	v_cmp_u_f32_e64 s[58:59], v158, v158                       // 0000000082F0: D048003A 00033D9E
	v_add3_u32 v40, v158, v43, 1                               // 0000000082F8: D1FF0028 0206579E
	v_cndmask_b32_e64 v16, v40, v42, s[58:59]                  // 000000008300: D1000010 00EA5528
	v_cmp_u_f32_e64 s[58:59], v159, v159                       // 000000008308: D048003A 00033F9F
	v_add3_u32 v40, v159, v43, 1                               // 000000008310: D1FF0028 0206579F
	v_cndmask_b32_e64 v17, v40, v42, s[58:59]                  // 000000008318: D1000011 00EA5528
	v_perm_b32 v151, v17, v16, s67                             // 000000008320: D1ED0097 010E2111
	v_cmp_u_f32_e64 s[58:59], v160, v160                       // 000000008328: D048003A 000341A0
	v_add3_u32 v40, v160, v43, 1                               // 000000008330: D1FF0028 020657A0
	v_cndmask_b32_e64 v16, v40, v42, s[58:59]                  // 000000008338: D1000010 00EA5528
	v_cmp_u_f32_e64 s[58:59], v161, v161                       // 000000008340: D048003A 000343A1
	v_add3_u32 v40, v161, v43, 1                               // 000000008348: D1FF0028 020657A1
	v_cndmask_b32_e64 v17, v40, v42, s[58:59]                  // 000000008350: D1000011 00EA5528
	v_perm_b32 v152, v17, v16, s67                             // 000000008358: D1ED0098 010E2111
	v_cmp_u_f32_e64 s[58:59], v162, v162                       // 000000008360: D048003A 000345A2
	v_add3_u32 v40, v162, v43, 1                               // 000000008368: D1FF0028 020657A2
	v_cndmask_b32_e64 v16, v40, v42, s[58:59]                  // 000000008370: D1000010 00EA5528
	v_cmp_u_f32_e64 s[58:59], v163, v163                       // 000000008378: D048003A 000347A3
	v_add3_u32 v40, v163, v43, 1                               // 000000008380: D1FF0028 020657A3
	v_cndmask_b32_e64 v17, v40, v42, s[58:59]                  // 000000008388: D1000011 00EA5528
	v_perm_b32 v153, v17, v16, s67                             // 000000008390: D1ED0099 010E2111
	v_cmp_u_f32_e64 s[58:59], v164, v164                       // 000000008398: D048003A 000349A4
	v_add3_u32 v40, v164, v43, 1                               // 0000000083A0: D1FF0028 020657A4
	v_cndmask_b32_e64 v16, v40, v42, s[58:59]                  // 0000000083A8: D1000010 00EA5528
	v_cmp_u_f32_e64 s[58:59], v165, v165                       // 0000000083B0: D048003A 00034BA5
	v_add3_u32 v40, v165, v43, 1                               // 0000000083B8: D1FF0028 020657A5
	v_cndmask_b32_e64 v17, v40, v42, s[58:59]                  // 0000000083C0: D1000011 00EA5528
	v_perm_b32 v154, v17, v16, s67                             // 0000000083C8: D1ED009A 010E2111
	v_cmp_u_f32_e64 s[58:59], v166, v166                       // 0000000083D0: D048003A 00034DA6
	v_add3_u32 v40, v166, v43, 1                               // 0000000083D8: D1FF0028 020657A6
	v_cndmask_b32_e64 v16, v40, v42, s[58:59]                  // 0000000083E0: D1000010 00EA5528
	v_cmp_u_f32_e64 s[58:59], v167, v167                       // 0000000083E8: D048003A 00034FA7
	v_add3_u32 v40, v167, v43, 1                               // 0000000083F0: D1FF0028 020657A7
	v_cndmask_b32_e64 v17, v40, v42, s[58:59]                  // 0000000083F8: D1000011 00EA5528
	v_perm_b32 v155, v17, v16, s67                             // 000000008400: D1ED009B 010E2111
	v_cmp_u_f32_e64 s[58:59], v168, v168                       // 000000008408: D048003A 000351A8
	v_add3_u32 v40, v168, v43, 1                               // 000000008410: D1FF0028 020657A8
	v_cndmask_b32_e64 v16, v40, v42, s[58:59]                  // 000000008418: D1000010 00EA5528
	v_cmp_u_f32_e64 s[58:59], v169, v169                       // 000000008420: D048003A 000353A9
	v_add3_u32 v40, v169, v43, 1                               // 000000008428: D1FF0028 020657A9
	v_cndmask_b32_e64 v17, v40, v42, s[58:59]                  // 000000008430: D1000011 00EA5528
	v_perm_b32 v156, v17, v16, s67                             // 000000008438: D1ED009C 010E2111
	v_cmp_u_f32_e64 s[58:59], v170, v170                       // 000000008440: D048003A 000355AA
	v_add3_u32 v40, v170, v43, 1                               // 000000008448: D1FF0028 020657AA
	v_cndmask_b32_e64 v16, v40, v42, s[58:59]                  // 000000008450: D1000010 00EA5528
	v_cmp_u_f32_e64 s[58:59], v171, v171                       // 000000008458: D048003A 000357AB
	v_add3_u32 v40, v171, v43, 1                               // 000000008460: D1FF0028 020657AB
	v_cndmask_b32_e64 v17, v40, v42, s[58:59]                  // 000000008468: D1000011 00EA5528
	v_perm_b32 v157, v17, v16, s67                             // 000000008470: D1ED009D 010E2111
	v_cmp_u_f32_e64 s[58:59], v172, v172                       // 000000008478: D048003A 000359AC
	v_add3_u32 v40, v172, v43, 1                               // 000000008480: D1FF0028 020657AC
	v_cndmask_b32_e64 v16, v40, v42, s[58:59]                  // 000000008488: D1000010 00EA5528
	v_cmp_u_f32_e64 s[58:59], v173, v173                       // 000000008490: D048003A 00035BAD
	v_add3_u32 v40, v173, v43, 1                               // 000000008498: D1FF0028 020657AD
	v_cndmask_b32_e64 v17, v40, v42, s[58:59]                  // 0000000084A0: D1000011 00EA5528
	v_perm_b32 v158, v17, v16, s67                             // 0000000084A8: D1ED009E 010E2111
	v_cmp_u_f32_e64 s[58:59], v174, v174                       // 0000000084B0: D048003A 00035DAE
	v_add3_u32 v40, v174, v43, 1                               // 0000000084B8: D1FF0028 020657AE
	v_cndmask_b32_e64 v16, v40, v42, s[58:59]                  // 0000000084C0: D1000010 00EA5528
	v_cmp_u_f32_e64 s[58:59], v175, v175                       // 0000000084C8: D048003A 00035FAF
	v_add3_u32 v40, v175, v43, 1                               // 0000000084D0: D1FF0028 020657AF
	v_cndmask_b32_e64 v17, v40, v42, s[58:59]                  // 0000000084D8: D1000011 00EA5528
	v_perm_b32 v159, v17, v16, s67                             // 0000000084E0: D1ED009F 010E2111
	ds_write_b64 v35, v[144:145]                               // 0000000084E8: D89A0000 00009023
	ds_write_b64 v35, v[146:147] offset:528                    // 0000000084F0: D89A0210 00009223
	ds_write_b64 v35, v[148:149] offset:1056                   // 0000000084F8: D89A0420 00009423
	ds_write_b64 v35, v[150:151] offset:1584                   // 000000008500: D89A0630 00009623
	ds_write_b64 v35, v[152:153] offset:2112                   // 000000008508: D89A0840 00009823
	ds_write_b64 v35, v[154:155] offset:2640                   // 000000008510: D89A0A50 00009A23
	ds_write_b64 v35, v[156:157] offset:3168                   // 000000008518: D89A0C60 00009C23
	ds_write_b64 v35, v[158:159] offset:3696                   // 000000008520: D89A0E70 00009E23
	s_waitcnt vmcnt(0) expcnt(0) lgkmcnt(0)                    // 000000008528: BF8C0000
	ds_read_b64 v[144:145], v34                                // 00000000852C: D8EC0000 90000022
	ds_read_b64 v[146:147], v34 offset:264                     // 000000008534: D8EC0108 92000022
	ds_read_b64 v[148:149], v34 offset:64                      // 00000000853C: D8EC0040 94000022
	ds_read_b64 v[150:151], v34 offset:328                     // 000000008544: D8EC0148 96000022
	ds_read_b64 v[152:153], v34 offset:128                     // 00000000854C: D8EC0080 98000022
	ds_read_b64 v[154:155], v34 offset:392                     // 000000008554: D8EC0188 9A000022
	ds_read_b64 v[156:157], v34 offset:192                     // 00000000855C: D8EC00C0 9C000022
	ds_read_b64 v[158:159], v34 offset:456                     // 000000008564: D8EC01C8 9E000022
	s_waitcnt vmcnt(0) expcnt(0) lgkmcnt(0)                    // 00000000856C: BF8C0000
	buffer_store_dwordx4 v[144:147], v8, s[20:23], 0 offen offset:128// 000000008570: E07C1080 80059008
	buffer_store_dwordx4 v[148:151], v9, s[20:23], 0 offen offset:128// 000000008578: E07C1080 80059409
	buffer_store_dwordx4 v[152:155], v10, s[20:23], 0 offen offset:128// 000000008580: E07C1080 8005980A
	buffer_store_dwordx4 v[156:159], v11, s[20:23], 0 offen offset:128// 000000008588: E07C1080 80059C0B
	s_cmp_eq_u32 s33, 0                                        // 000000008590: BF068021
	s_cbranch_scc1 label_12AC                                  // 000000008594: BF850006
	v_cmp_ge_f32_e64 s[34:35], v2, v31                         // 000000008598: D0460022 00023F02
	v_cndmask_b32_e64 v2, v31, v2, s[34:35]                    // 0000000085A0: D1000002 008A051F
	buffer_store_dword v2, v3, s[24:27], 0 offen               // 0000000085A8: E0701000 80060203

00000000000085b0 <label_12AC>:
	s_waitcnt vmcnt(0) expcnt(0) lgkmcnt(0)                    // 0000000085B0: BF8C0000
	s_endpgm                                                   // 0000000085B4: BF810000
